;; amdgpu-corpus repo=ROCm/rocFFT kind=compiled arch=gfx906 opt=O3
	.text
	.amdgcn_target "amdgcn-amd-amdhsa--gfx906"
	.amdhsa_code_object_version 6
	.protected	fft_rtc_fwd_len840_factors_2_2_2_3_5_7_wgs_56_tpt_56_halfLds_sp_op_CI_CI_unitstride_sbrr_R2C_dirReg ; -- Begin function fft_rtc_fwd_len840_factors_2_2_2_3_5_7_wgs_56_tpt_56_halfLds_sp_op_CI_CI_unitstride_sbrr_R2C_dirReg
	.globl	fft_rtc_fwd_len840_factors_2_2_2_3_5_7_wgs_56_tpt_56_halfLds_sp_op_CI_CI_unitstride_sbrr_R2C_dirReg
	.p2align	8
	.type	fft_rtc_fwd_len840_factors_2_2_2_3_5_7_wgs_56_tpt_56_halfLds_sp_op_CI_CI_unitstride_sbrr_R2C_dirReg,@function
fft_rtc_fwd_len840_factors_2_2_2_3_5_7_wgs_56_tpt_56_halfLds_sp_op_CI_CI_unitstride_sbrr_R2C_dirReg: ; @fft_rtc_fwd_len840_factors_2_2_2_3_5_7_wgs_56_tpt_56_halfLds_sp_op_CI_CI_unitstride_sbrr_R2C_dirReg
; %bb.0:
	s_load_dwordx4 s[8:11], s[4:5], 0x58
	s_load_dwordx4 s[12:15], s[4:5], 0x0
	;; [unrolled: 1-line block ×3, first 2 shown]
	v_mul_u32_u24_e32 v1, 0x493, v0
	v_add_u32_sdwa v5, s6, v1 dst_sel:DWORD dst_unused:UNUSED_PAD src0_sel:DWORD src1_sel:WORD_1
	v_mov_b32_e32 v3, 0
	s_waitcnt lgkmcnt(0)
	v_cmp_lt_u64_e64 s[0:1], s[14:15], 2
	v_mov_b32_e32 v1, 0
	v_mov_b32_e32 v6, v3
	s_and_b64 vcc, exec, s[0:1]
	v_mov_b32_e32 v2, 0
	s_cbranch_vccnz .LBB0_8
; %bb.1:
	s_load_dwordx2 s[0:1], s[4:5], 0x10
	s_add_u32 s2, s18, 8
	s_addc_u32 s3, s19, 0
	s_add_u32 s6, s16, 8
	v_mov_b32_e32 v1, 0
	s_addc_u32 s7, s17, 0
	v_mov_b32_e32 v2, 0
	s_waitcnt lgkmcnt(0)
	s_add_u32 s20, s0, 8
	v_mov_b32_e32 v37, v2
	s_addc_u32 s21, s1, 0
	s_mov_b64 s[22:23], 1
	v_mov_b32_e32 v36, v1
.LBB0_2:                                ; =>This Inner Loop Header: Depth=1
	s_load_dwordx2 s[24:25], s[20:21], 0x0
                                        ; implicit-def: $vgpr40_vgpr41
	s_waitcnt lgkmcnt(0)
	v_or_b32_e32 v4, s25, v6
	v_cmp_ne_u64_e32 vcc, 0, v[3:4]
	s_and_saveexec_b64 s[0:1], vcc
	s_xor_b64 s[26:27], exec, s[0:1]
	s_cbranch_execz .LBB0_4
; %bb.3:                                ;   in Loop: Header=BB0_2 Depth=1
	v_cvt_f32_u32_e32 v4, s24
	v_cvt_f32_u32_e32 v7, s25
	s_sub_u32 s0, 0, s24
	s_subb_u32 s1, 0, s25
	v_mac_f32_e32 v4, 0x4f800000, v7
	v_rcp_f32_e32 v4, v4
	v_mul_f32_e32 v4, 0x5f7ffffc, v4
	v_mul_f32_e32 v7, 0x2f800000, v4
	v_trunc_f32_e32 v7, v7
	v_mac_f32_e32 v4, 0xcf800000, v7
	v_cvt_u32_f32_e32 v7, v7
	v_cvt_u32_f32_e32 v4, v4
	v_mul_lo_u32 v8, s0, v7
	v_mul_hi_u32 v9, s0, v4
	v_mul_lo_u32 v11, s1, v4
	v_mul_lo_u32 v10, s0, v4
	v_add_u32_e32 v8, v9, v8
	v_add_u32_e32 v8, v8, v11
	v_mul_hi_u32 v9, v4, v10
	v_mul_lo_u32 v11, v4, v8
	v_mul_hi_u32 v13, v4, v8
	v_mul_hi_u32 v12, v7, v10
	v_mul_lo_u32 v10, v7, v10
	v_mul_hi_u32 v14, v7, v8
	v_add_co_u32_e32 v9, vcc, v9, v11
	v_addc_co_u32_e32 v11, vcc, 0, v13, vcc
	v_mul_lo_u32 v8, v7, v8
	v_add_co_u32_e32 v9, vcc, v9, v10
	v_addc_co_u32_e32 v9, vcc, v11, v12, vcc
	v_addc_co_u32_e32 v10, vcc, 0, v14, vcc
	v_add_co_u32_e32 v8, vcc, v9, v8
	v_addc_co_u32_e32 v9, vcc, 0, v10, vcc
	v_add_co_u32_e32 v4, vcc, v4, v8
	v_addc_co_u32_e32 v7, vcc, v7, v9, vcc
	v_mul_lo_u32 v8, s0, v7
	v_mul_hi_u32 v9, s0, v4
	v_mul_lo_u32 v10, s1, v4
	v_mul_lo_u32 v11, s0, v4
	v_add_u32_e32 v8, v9, v8
	v_add_u32_e32 v8, v8, v10
	v_mul_lo_u32 v12, v4, v8
	v_mul_hi_u32 v13, v4, v11
	v_mul_hi_u32 v14, v4, v8
	v_mul_hi_u32 v10, v7, v11
	v_mul_lo_u32 v11, v7, v11
	v_mul_hi_u32 v9, v7, v8
	v_add_co_u32_e32 v12, vcc, v13, v12
	v_addc_co_u32_e32 v13, vcc, 0, v14, vcc
	v_mul_lo_u32 v8, v7, v8
	v_add_co_u32_e32 v11, vcc, v12, v11
	v_addc_co_u32_e32 v10, vcc, v13, v10, vcc
	v_addc_co_u32_e32 v9, vcc, 0, v9, vcc
	v_add_co_u32_e32 v8, vcc, v10, v8
	v_addc_co_u32_e32 v9, vcc, 0, v9, vcc
	v_add_co_u32_e32 v4, vcc, v4, v8
	v_addc_co_u32_e32 v9, vcc, v7, v9, vcc
	v_mad_u64_u32 v[7:8], s[0:1], v5, v9, 0
	v_mul_hi_u32 v10, v5, v4
	v_add_co_u32_e32 v11, vcc, v10, v7
	v_addc_co_u32_e32 v12, vcc, 0, v8, vcc
	v_mad_u64_u32 v[7:8], s[0:1], v6, v4, 0
	v_mad_u64_u32 v[9:10], s[0:1], v6, v9, 0
	v_add_co_u32_e32 v4, vcc, v11, v7
	v_addc_co_u32_e32 v4, vcc, v12, v8, vcc
	v_addc_co_u32_e32 v7, vcc, 0, v10, vcc
	v_add_co_u32_e32 v4, vcc, v4, v9
	v_addc_co_u32_e32 v9, vcc, 0, v7, vcc
	v_mul_lo_u32 v10, s25, v4
	v_mul_lo_u32 v11, s24, v9
	v_mad_u64_u32 v[7:8], s[0:1], s24, v4, 0
	v_add3_u32 v8, v8, v11, v10
	v_sub_u32_e32 v10, v6, v8
	v_mov_b32_e32 v11, s25
	v_sub_co_u32_e32 v7, vcc, v5, v7
	v_subb_co_u32_e64 v10, s[0:1], v10, v11, vcc
	v_subrev_co_u32_e64 v11, s[0:1], s24, v7
	v_subbrev_co_u32_e64 v10, s[0:1], 0, v10, s[0:1]
	v_cmp_le_u32_e64 s[0:1], s25, v10
	v_cndmask_b32_e64 v12, 0, -1, s[0:1]
	v_cmp_le_u32_e64 s[0:1], s24, v11
	v_cndmask_b32_e64 v11, 0, -1, s[0:1]
	v_cmp_eq_u32_e64 s[0:1], s25, v10
	v_cndmask_b32_e64 v10, v12, v11, s[0:1]
	v_add_co_u32_e64 v11, s[0:1], 2, v4
	v_addc_co_u32_e64 v12, s[0:1], 0, v9, s[0:1]
	v_add_co_u32_e64 v13, s[0:1], 1, v4
	v_addc_co_u32_e64 v14, s[0:1], 0, v9, s[0:1]
	v_subb_co_u32_e32 v8, vcc, v6, v8, vcc
	v_cmp_ne_u32_e64 s[0:1], 0, v10
	v_cmp_le_u32_e32 vcc, s25, v8
	v_cndmask_b32_e64 v10, v14, v12, s[0:1]
	v_cndmask_b32_e64 v12, 0, -1, vcc
	v_cmp_le_u32_e32 vcc, s24, v7
	v_cndmask_b32_e64 v7, 0, -1, vcc
	v_cmp_eq_u32_e32 vcc, s25, v8
	v_cndmask_b32_e32 v7, v12, v7, vcc
	v_cmp_ne_u32_e32 vcc, 0, v7
	v_cndmask_b32_e64 v7, v13, v11, s[0:1]
	v_cndmask_b32_e32 v41, v9, v10, vcc
	v_cndmask_b32_e32 v40, v4, v7, vcc
.LBB0_4:                                ;   in Loop: Header=BB0_2 Depth=1
	s_andn2_saveexec_b64 s[0:1], s[26:27]
	s_cbranch_execz .LBB0_6
; %bb.5:                                ;   in Loop: Header=BB0_2 Depth=1
	v_cvt_f32_u32_e32 v4, s24
	s_sub_i32 s26, 0, s24
	v_mov_b32_e32 v41, v3
	v_rcp_iflag_f32_e32 v4, v4
	v_mul_f32_e32 v4, 0x4f7ffffe, v4
	v_cvt_u32_f32_e32 v4, v4
	v_mul_lo_u32 v7, s26, v4
	v_mul_hi_u32 v7, v4, v7
	v_add_u32_e32 v4, v4, v7
	v_mul_hi_u32 v4, v5, v4
	v_mul_lo_u32 v7, v4, s24
	v_add_u32_e32 v8, 1, v4
	v_sub_u32_e32 v7, v5, v7
	v_subrev_u32_e32 v9, s24, v7
	v_cmp_le_u32_e32 vcc, s24, v7
	v_cndmask_b32_e32 v7, v7, v9, vcc
	v_cndmask_b32_e32 v4, v4, v8, vcc
	v_add_u32_e32 v8, 1, v4
	v_cmp_le_u32_e32 vcc, s24, v7
	v_cndmask_b32_e32 v40, v4, v8, vcc
.LBB0_6:                                ;   in Loop: Header=BB0_2 Depth=1
	s_or_b64 exec, exec, s[0:1]
	v_mul_lo_u32 v4, v41, s24
	v_mul_lo_u32 v9, v40, s25
	v_mad_u64_u32 v[7:8], s[0:1], v40, s24, 0
	s_load_dwordx2 s[0:1], s[6:7], 0x0
	s_load_dwordx2 s[24:25], s[2:3], 0x0
	v_add3_u32 v4, v8, v9, v4
	v_sub_co_u32_e32 v5, vcc, v5, v7
	v_subb_co_u32_e32 v4, vcc, v6, v4, vcc
	s_waitcnt lgkmcnt(0)
	v_mul_lo_u32 v6, s0, v4
	v_mul_lo_u32 v7, s1, v5
	v_mad_u64_u32 v[1:2], s[0:1], s0, v5, v[1:2]
	v_mul_lo_u32 v4, s24, v4
	v_mul_lo_u32 v8, s25, v5
	v_mad_u64_u32 v[36:37], s[0:1], s24, v5, v[36:37]
	s_add_u32 s22, s22, 1
	s_addc_u32 s23, s23, 0
	s_add_u32 s2, s2, 8
	v_add3_u32 v37, v8, v37, v4
	s_addc_u32 s3, s3, 0
	v_mov_b32_e32 v4, s14
	s_add_u32 s6, s6, 8
	v_mov_b32_e32 v5, s15
	s_addc_u32 s7, s7, 0
	v_cmp_ge_u64_e32 vcc, s[22:23], v[4:5]
	s_add_u32 s20, s20, 8
	v_add3_u32 v2, v7, v2, v6
	s_addc_u32 s21, s21, 0
	s_cbranch_vccnz .LBB0_9
; %bb.7:                                ;   in Loop: Header=BB0_2 Depth=1
	v_mov_b32_e32 v5, v40
	v_mov_b32_e32 v6, v41
	s_branch .LBB0_2
.LBB0_8:
	v_mov_b32_e32 v37, v2
	v_mov_b32_e32 v41, v6
	;; [unrolled: 1-line block ×4, first 2 shown]
.LBB0_9:
	s_load_dwordx2 s[4:5], s[4:5], 0x28
	s_lshl_b64 s[6:7], s[14:15], 3
	s_add_u32 s2, s18, s6
	s_addc_u32 s3, s19, s7
                                        ; implicit-def: $vgpr38
                                        ; implicit-def: $vgpr42
                                        ; implicit-def: $vgpr51
                                        ; implicit-def: $vgpr50
                                        ; implicit-def: $vgpr45
                                        ; implicit-def: $vgpr47
                                        ; implicit-def: $vgpr49
                                        ; implicit-def: $vgpr44
	s_waitcnt lgkmcnt(0)
	v_cmp_gt_u64_e64 s[0:1], s[4:5], v[40:41]
	v_cmp_le_u64_e32 vcc, s[4:5], v[40:41]
	s_and_saveexec_b64 s[4:5], vcc
	s_xor_b64 s[4:5], exec, s[4:5]
; %bb.10:
	s_mov_b32 s14, 0x4924925
	v_mul_hi_u32 v1, v0, s14
	v_mul_u32_u24_e32 v1, 56, v1
	v_sub_u32_e32 v38, v0, v1
	v_add_u32_e32 v42, 56, v38
	v_add_u32_e32 v51, 0x70, v38
	;; [unrolled: 1-line block ×7, first 2 shown]
                                        ; implicit-def: $vgpr0
                                        ; implicit-def: $vgpr1_vgpr2
; %bb.11:
	s_andn2_saveexec_b64 s[4:5], s[4:5]
	s_cbranch_execz .LBB0_13
; %bb.12:
	s_add_u32 s6, s16, s6
	s_addc_u32 s7, s17, s7
	s_load_dwordx2 s[6:7], s[6:7], 0x0
	s_mov_b32 s14, 0x4924925
	v_mul_hi_u32 v5, v0, s14
	s_waitcnt lgkmcnt(0)
	v_mul_lo_u32 v6, s7, v40
	v_mul_lo_u32 v7, s6, v41
	v_mad_u64_u32 v[3:4], s[6:7], s6, v40, 0
	v_mul_u32_u24_e32 v5, 56, v5
	v_sub_u32_e32 v38, v0, v5
	v_add3_u32 v4, v4, v7, v6
	v_lshlrev_b64 v[3:4], 3, v[3:4]
	v_mov_b32_e32 v0, s9
	v_add_co_u32_e32 v3, vcc, s8, v3
	v_addc_co_u32_e32 v4, vcc, v0, v4, vcc
	v_lshlrev_b64 v[0:1], 3, v[1:2]
	v_lshlrev_b32_e32 v34, 3, v38
	v_add_co_u32_e32 v0, vcc, v3, v0
	v_addc_co_u32_e32 v1, vcc, v4, v1, vcc
	v_add_co_u32_e32 v0, vcc, v0, v34
	v_addc_co_u32_e32 v1, vcc, 0, v1, vcc
	v_add_co_u32_e32 v18, vcc, 0x1000, v0
	global_load_dwordx2 v[2:3], v[0:1], off
	global_load_dwordx2 v[4:5], v[0:1], off offset:448
	global_load_dwordx2 v[6:7], v[0:1], off offset:896
	;; [unrolled: 1-line block ×7, first 2 shown]
	v_addc_co_u32_e32 v19, vcc, 0, v1, vcc
	global_load_dwordx2 v[20:21], v[0:1], off offset:3584
	global_load_dwordx2 v[22:23], v[0:1], off offset:4032
	;; [unrolled: 1-line block ×7, first 2 shown]
	v_add_u32_e32 v42, 56, v38
	v_add_u32_e32 v51, 0x70, v38
	;; [unrolled: 1-line block ×11, first 2 shown]
	s_waitcnt vmcnt(13)
	ds_write2_b64 v0, v[2:3], v[4:5] offset1:56
	s_waitcnt vmcnt(9)
	ds_write2_b64 v1, v[10:11], v[12:13] offset0:96 offset1:152
	ds_write2_b64 v0, v[6:7], v[8:9] offset0:112 offset1:168
	s_waitcnt vmcnt(7)
	ds_write2_b64 v18, v[14:15], v[16:17] offset0:80 offset1:136
	s_waitcnt vmcnt(5)
	;; [unrolled: 2-line block ×5, first 2 shown]
	ds_write_b64 v0, v[32:33] offset:6272
.LBB0_13:
	s_or_b64 exec, exec, s[4:5]
	v_lshlrev_b32_e32 v39, 3, v38
	v_add_u32_e32 v46, 0, v39
	v_add_u32_e32 v0, 0x800, v46
	s_load_dwordx2 s[6:7], s[2:3], 0x0
	s_waitcnt lgkmcnt(0)
	; wave barrier
	s_waitcnt lgkmcnt(0)
	ds_read2_b64 v[3:6], v46 offset1:56
	ds_read2_b64 v[7:10], v0 offset0:164 offset1:220
	v_add_u32_e32 v15, 0x1400, v46
	v_lshl_add_u32 v53, v42, 4, 0
	v_lshl_add_u32 v54, v51, 4, 0
	v_lshl_add_u32 v55, v50, 4, 0
	s_waitcnt lgkmcnt(0)
	v_sub_f32_e32 v1, v3, v7
	v_sub_f32_e32 v2, v4, v8
	v_fma_f32 v7, v3, 2.0, -v1
	v_add_u32_e32 v3, 0x400, v46
	v_fma_f32 v8, v4, 2.0, -v2
	v_add_u32_e32 v4, 0x1000, v46
	ds_read2_b64 v[11:14], v3 offset0:96 offset1:152
	ds_read2_b64 v[15:18], v15 offset0:116 offset1:172
	;; [unrolled: 1-line block ×6, first 2 shown]
	v_add_u32_e32 v3, v46, v39
	s_waitcnt lgkmcnt(0)
	; wave barrier
	s_waitcnt lgkmcnt(0)
	ds_write2_b64 v3, v[7:8], v[1:2] offset1:1
	v_sub_f32_e32 v2, v6, v10
	v_sub_f32_e32 v10, v22, v26
	;; [unrolled: 1-line block ×10, first 2 shown]
	v_fma_f32 v30, v14, 2.0, -v26
	v_sub_f32_e32 v60, v31, v15
	v_sub_f32_e32 v61, v32, v16
	;; [unrolled: 1-line block ×4, first 2 shown]
	v_fma_f32 v5, v5, 2.0, -v1
	v_fma_f32 v6, v6, 2.0, -v2
	;; [unrolled: 1-line block ×13, first 2 shown]
	v_lshl_add_u32 v56, v45, 4, 0
	v_lshl_add_u32 v57, v47, 4, 0
	;; [unrolled: 1-line block ×3, first 2 shown]
	v_cmp_gt_u32_e32 vcc, 28, v38
	ds_write2_b64 v53, v[5:6], v[1:2] offset1:1
	ds_write2_b64 v54, v[19:20], v[7:8] offset1:1
	;; [unrolled: 1-line block ×6, first 2 shown]
	s_and_saveexec_b64 s[2:3], vcc
	s_cbranch_execz .LBB0_15
; %bb.14:
	v_lshl_add_u32 v1, v44, 4, 0
	ds_write2_b64 v1, v[12:13], v[14:15] offset1:1
.LBB0_15:
	s_or_b64 exec, exec, s[2:3]
	v_lshlrev_b32_e32 v52, 3, v42
	v_lshlrev_b32_e32 v60, 3, v51
	;; [unrolled: 1-line block ×6, first 2 shown]
	v_sub_u32_e32 v5, v53, v52
	v_sub_u32_e32 v6, v54, v60
	;; [unrolled: 1-line block ×6, first 2 shown]
	s_waitcnt lgkmcnt(0)
	; wave barrier
	s_waitcnt lgkmcnt(0)
	ds_read_b64 v[16:17], v46
	ds_read2_b64 v[0:3], v0 offset0:164 offset1:220
	ds_read_b64 v[24:25], v7
	ds_read_b64 v[22:23], v8
	;; [unrolled: 1-line block ×6, first 2 shown]
	ds_read_b64 v[30:31], v46 offset:6048
	ds_read2_b64 v[8:11], v4 offset0:20 offset1:76
	ds_read2_b64 v[4:7], v4 offset0:132 offset1:188
	v_lshlrev_b32_e32 v34, 1, v42
	v_lshlrev_b32_e32 v35, 1, v51
	;; [unrolled: 1-line block ×6, first 2 shown]
	v_lshl_add_u32 v58, v44, 3, 0
	s_and_saveexec_b64 s[2:3], vcc
	s_cbranch_execz .LBB0_17
; %bb.16:
	ds_read_b64 v[12:13], v58
	ds_read_b64 v[14:15], v46 offset:6496
.LBB0_17:
	s_or_b64 exec, exec, s[2:3]
	v_sub_u32_e32 v63, 0, v60
	v_sub_u32_e32 v60, 0, v66
	v_and_b32_e32 v66, 1, v38
	v_sub_u32_e32 v62, 0, v61
	v_sub_u32_e32 v61, 0, v65
	;; [unrolled: 1-line block ×3, first 2 shown]
	v_lshlrev_b32_e32 v67, 3, v66
	global_load_dwordx2 v[67:68], v67, s[12:13]
	v_sub_u32_e32 v64, 0, v52
	v_lshlrev_b32_e32 v52, 1, v38
	s_movk_i32 s2, 0x7c
	s_waitcnt lgkmcnt(0)
	; wave barrier
	s_waitcnt lgkmcnt(0)
	s_movk_i32 s3, 0x2fc
	s_waitcnt vmcnt(0)
	v_mul_f32_e32 v69, v68, v1
	v_fma_f32 v69, v67, v0, -v69
	v_mul_f32_e32 v70, v68, v0
	v_mul_f32_e32 v0, v68, v3
	v_fma_f32 v71, v67, v2, -v0
	v_mul_f32_e32 v0, v68, v9
	v_fma_f32 v73, v67, v8, -v0
	;; [unrolled: 2-line block ×5, first 2 shown]
	v_mul_f32_e32 v0, v68, v31
	v_fmac_f32_e32 v70, v67, v1
	v_mul_f32_e32 v72, v68, v2
	v_mul_f32_e32 v74, v68, v8
	;; [unrolled: 1-line block ×5, first 2 shown]
	v_fma_f32 v81, v67, v30, -v0
	v_mul_f32_e32 v82, v68, v30
	v_mul_f32_e32 v0, v15, v68
	;; [unrolled: 1-line block ×3, first 2 shown]
	v_fmac_f32_e32 v72, v67, v3
	v_fmac_f32_e32 v74, v67, v9
	;; [unrolled: 1-line block ×6, first 2 shown]
	v_fma_f32 v83, v14, v67, -v0
	v_fmac_f32_e32 v68, v15, v67
	v_sub_f32_e32 v0, v16, v69
	v_sub_f32_e32 v1, v17, v70
	v_and_or_b32 v67, v52, s2, v66
	v_fma_f32 v2, v16, 2.0, -v0
	v_fma_f32 v3, v17, 2.0, -v1
	v_lshl_add_u32 v67, v67, 3, 0
	s_movk_i32 s2, 0xfc
	v_sub_f32_e32 v4, v28, v71
	v_sub_f32_e32 v5, v29, v72
	ds_write2_b64 v67, v[2:3], v[0:1] offset1:2
	v_and_or_b32 v0, v34, s2, v66
	v_fma_f32 v6, v28, 2.0, -v4
	v_fma_f32 v7, v29, 2.0, -v5
	v_lshl_add_u32 v0, v0, 3, 0
	s_movk_i32 s2, 0x1fc
	v_sub_f32_e32 v8, v26, v73
	v_sub_f32_e32 v9, v27, v74
	ds_write2_b64 v0, v[6:7], v[4:5] offset1:2
	v_and_or_b32 v0, v35, s2, v66
	v_fma_f32 v10, v26, 2.0, -v8
	v_fma_f32 v11, v27, 2.0, -v9
	v_lshl_add_u32 v0, v0, 3, 0
	v_sub_f32_e32 v16, v24, v75
	v_sub_f32_e32 v17, v25, v76
	ds_write2_b64 v0, v[10:11], v[8:9] offset1:2
	v_and_or_b32 v0, v43, s2, v66
	v_fma_f32 v24, v24, 2.0, -v16
	v_fma_f32 v25, v25, 2.0, -v17
	v_lshl_add_u32 v0, v0, 3, 0
	s_movk_i32 s2, 0x3fc
	v_sub_f32_e32 v26, v22, v77
	v_sub_f32_e32 v27, v23, v78
	ds_write2_b64 v0, v[24:25], v[16:17] offset1:2
	v_and_or_b32 v0, v48, s2, v66
	v_fma_f32 v22, v22, 2.0, -v26
	v_fma_f32 v23, v23, 2.0, -v27
	v_lshl_add_u32 v0, v0, 3, 0
	v_sub_f32_e32 v28, v20, v79
	v_sub_f32_e32 v29, v21, v80
	ds_write2_b64 v0, v[22:23], v[26:27] offset1:2
	v_and_or_b32 v0, v33, s3, v66
	v_fma_f32 v20, v20, 2.0, -v28
	v_fma_f32 v21, v21, 2.0, -v29
	v_lshl_add_u32 v0, v0, 3, 0
	v_sub_f32_e32 v30, v18, v81
	v_sub_f32_e32 v31, v19, v82
	;; [unrolled: 1-line block ×4, first 2 shown]
	ds_write2_b64 v0, v[20:21], v[28:29] offset1:2
	v_and_or_b32 v0, v32, s2, v66
	v_fma_f32 v18, v18, 2.0, -v30
	v_fma_f32 v19, v19, 2.0, -v31
	;; [unrolled: 1-line block ×4, first 2 shown]
	v_lshl_add_u32 v0, v0, 3, 0
	v_lshlrev_b32_e32 v67, 1, v44
	ds_write2_b64 v0, v[18:19], v[30:31] offset1:2
	s_and_saveexec_b64 s[2:3], vcc
	s_cbranch_execz .LBB0_19
; %bb.18:
	s_movk_i32 s4, 0x37c
	v_and_or_b32 v0, v67, s4, v66
	v_lshl_add_u32 v0, v0, 3, 0
	ds_write2_b64 v0, v[12:13], v[14:15] offset1:2
.LBB0_19:
	s_or_b64 exec, exec, s[2:3]
	v_add_u32_e32 v0, 0x800, v46
	v_add_u32_e32 v63, v54, v63
	;; [unrolled: 1-line block ×4, first 2 shown]
	s_waitcnt lgkmcnt(0)
	; wave barrier
	s_waitcnt lgkmcnt(0)
	ds_read_b64 v[16:17], v46
	ds_read_b64 v[18:19], v63
	ds_read2_b64 v[0:3], v0 offset0:164 offset1:220
	v_add_u32_e32 v64, v53, v64
	ds_read2_b64 v[4:7], v8 offset0:20 offset1:76
	v_add_u32_e32 v61, v56, v61
	ds_read2_b64 v[8:11], v8 offset0:132 offset1:188
	v_add_u32_e32 v60, v57, v60
	v_add_u32_e32 v59, v59, v65
	ds_read_b64 v[26:27], v62
	ds_read_b64 v[24:25], v61
	;; [unrolled: 1-line block ×5, first 2 shown]
	ds_read_b64 v[30:31], v46 offset:6048
	s_and_saveexec_b64 s[2:3], vcc
	s_cbranch_execz .LBB0_21
; %bb.20:
	ds_read_b64 v[12:13], v58
	ds_read_b64 v[14:15], v46 offset:6496
.LBB0_21:
	s_or_b64 exec, exec, s[2:3]
	v_and_b32_e32 v53, 3, v38
	v_lshlrev_b32_e32 v54, 3, v53
	global_load_dwordx2 v[54:55], v54, s[12:13] offset:16
	s_movk_i32 s2, 0x78
	s_movk_i32 s3, 0xf8
	s_movk_i32 s4, 0x1f8
	s_movk_i32 s5, 0x3f8
	v_and_or_b32 v52, v52, s2, v53
	s_movk_i32 s8, 0x2f8
	v_and_or_b32 v34, v34, s3, v53
	v_and_or_b32 v35, v35, s4, v53
	v_and_or_b32 v43, v43, s4, v53
	v_and_or_b32 v48, v48, s5, v53
	v_lshl_add_u32 v52, v52, 3, 0
	s_waitcnt lgkmcnt(0)
	; wave barrier
	s_waitcnt lgkmcnt(0)
	v_lshl_add_u32 v34, v34, 3, 0
	v_lshl_add_u32 v35, v35, 3, 0
	;; [unrolled: 1-line block ×4, first 2 shown]
	s_waitcnt vmcnt(0)
	v_mul_f32_e32 v56, v55, v1
	v_mul_f32_e32 v57, v55, v0
	;; [unrolled: 1-line block ×10, first 2 shown]
	v_fma_f32 v0, v54, v0, -v56
	v_fmac_f32_e32 v57, v54, v1
	v_mul_f32_e32 v74, v55, v11
	v_mul_f32_e32 v75, v55, v10
	v_fma_f32 v1, v54, v2, -v65
	v_fmac_f32_e32 v66, v54, v3
	v_fma_f32 v56, v54, v4, -v68
	v_fmac_f32_e32 v69, v54, v5
	;; [unrolled: 2-line block ×4, first 2 shown]
	v_sub_f32_e32 v2, v16, v0
	v_sub_f32_e32 v3, v17, v57
	v_mul_f32_e32 v76, v55, v31
	v_mul_f32_e32 v77, v55, v30
	;; [unrolled: 1-line block ×4, first 2 shown]
	v_fma_f32 v70, v54, v10, -v74
	v_fmac_f32_e32 v75, v54, v11
	v_sub_f32_e32 v4, v28, v1
	v_sub_f32_e32 v5, v29, v66
	;; [unrolled: 1-line block ×8, first 2 shown]
	v_fma_f32 v16, v16, 2.0, -v2
	v_fma_f32 v17, v17, 2.0, -v3
	v_fma_f32 v72, v14, v54, -v78
	v_fmac_f32_e32 v55, v15, v54
	v_sub_f32_e32 v14, v22, v70
	v_sub_f32_e32 v15, v23, v75
	v_fma_f32 v28, v28, 2.0, -v4
	v_fma_f32 v29, v29, 2.0, -v5
	v_fma_f32 v18, v18, 2.0, -v6
	v_fma_f32 v19, v19, 2.0, -v7
	v_fma_f32 v26, v26, 2.0, -v8
	v_fma_f32 v27, v27, 2.0, -v9
	v_fma_f32 v24, v24, 2.0, -v10
	v_fma_f32 v25, v25, 2.0, -v11
	ds_write2_b64 v52, v[16:17], v[2:3] offset1:4
	ds_write2_b64 v34, v[28:29], v[4:5] offset1:4
	;; [unrolled: 1-line block ×5, first 2 shown]
	v_and_or_b32 v2, v33, s8, v53
	v_fma_f32 v30, v54, v30, -v76
	v_fmac_f32_e32 v77, v54, v31
	v_fma_f32 v22, v22, 2.0, -v14
	v_fma_f32 v23, v23, 2.0, -v15
	v_lshl_add_u32 v2, v2, 3, 0
	v_sub_f32_e32 v30, v20, v30
	v_sub_f32_e32 v31, v21, v77
	ds_write2_b64 v2, v[22:23], v[14:15] offset1:4
	v_and_or_b32 v2, v32, s5, v53
	v_sub_f32_e32 v0, v12, v72
	v_sub_f32_e32 v1, v13, v55
	v_fma_f32 v20, v20, 2.0, -v30
	v_fma_f32 v21, v21, 2.0, -v31
	v_lshl_add_u32 v2, v2, 3, 0
	ds_write2_b64 v2, v[20:21], v[30:31] offset1:4
	s_and_saveexec_b64 s[2:3], vcc
	s_cbranch_execz .LBB0_23
; %bb.22:
	s_movk_i32 s4, 0x378
	v_and_or_b32 v2, v67, s4, v53
	v_lshl_add_u32 v4, v2, 3, 0
	v_fma_f32 v3, v13, 2.0, -v1
	v_fma_f32 v2, v12, 2.0, -v0
	ds_write2_b64 v4, v[2:3], v[0:1] offset1:4
.LBB0_23:
	s_or_b64 exec, exec, s[2:3]
	v_and_b32_e32 v43, 7, v38
	v_add_u32_e32 v48, 0x1000, v46
	v_add_u32_e32 v54, 0x800, v46
	v_lshlrev_b32_e32 v18, 4, v43
	s_waitcnt lgkmcnt(0)
	; wave barrier
	s_waitcnt lgkmcnt(0)
	ds_read_b64 v[22:23], v46
	ds_read_b64 v[24:25], v60
	ds_read2_b64 v[2:5], v48 offset0:48 offset1:104
	ds_read_b64 v[26:27], v64
	ds_read2_b64 v[6:9], v54 offset0:80 offset1:136
	;; [unrolled: 2-line block ×4, first 2 shown]
	ds_read_b64 v[32:33], v61
	ds_read_b64 v[34:35], v46 offset:6272
	global_load_dwordx4 v[18:21], v18, s[12:13] offset:48
	s_waitcnt lgkmcnt(0)
	; wave barrier
	s_waitcnt lgkmcnt(0)
	s_movk_i32 s2, 0xab
	s_waitcnt vmcnt(0)
	v_mul_f32_e32 v52, v19, v25
	v_fma_f32 v52, v18, v24, -v52
	v_mul_f32_e32 v24, v19, v24
	v_fmac_f32_e32 v24, v18, v25
	v_mul_f32_e32 v25, v21, v3
	v_fma_f32 v25, v20, v2, -v25
	v_mul_f32_e32 v53, v21, v2
	v_mul_f32_e32 v2, v19, v7
	v_fma_f32 v55, v18, v6, -v2
	v_mul_f32_e32 v2, v21, v5
	v_fma_f32 v57, v20, v4, -v2
	;; [unrolled: 2-line block ×6, first 2 shown]
	v_mul_f32_e32 v2, v17, v19
	v_fmac_f32_e32 v53, v20, v3
	v_fma_f32 v74, v16, v18, -v2
	v_mul_f32_e32 v2, v35, v21
	v_add_f32_e32 v3, v52, v25
	v_mul_f32_e32 v65, v21, v4
	v_fma_f32 v76, v34, v20, -v2
	v_add_f32_e32 v2, v22, v52
	v_fma_f32 v22, -0.5, v3, v22
	v_fmac_f32_e32 v65, v20, v5
	v_sub_f32_e32 v3, v24, v53
	v_mov_b32_e32 v4, v22
	v_add_f32_e32 v5, v24, v53
	v_mul_f32_e32 v56, v19, v6
	v_fmac_f32_e32 v4, 0x3f5db3d7, v3
	v_fmac_f32_e32 v22, 0xbf5db3d7, v3
	v_add_f32_e32 v3, v23, v24
	v_fmac_f32_e32 v23, -0.5, v5
	v_fmac_f32_e32 v56, v18, v7
	v_sub_f32_e32 v6, v52, v25
	v_mov_b32_e32 v5, v23
	v_add_f32_e32 v7, v55, v57
	v_mul_f32_e32 v67, v19, v8
	v_fmac_f32_e32 v5, 0xbf5db3d7, v6
	v_fmac_f32_e32 v23, 0x3f5db3d7, v6
	v_add_f32_e32 v6, v26, v55
	v_fma_f32 v26, -0.5, v7, v26
	v_fmac_f32_e32 v67, v18, v9
	v_sub_f32_e32 v7, v56, v65
	v_mov_b32_e32 v8, v26
	v_add_f32_e32 v9, v56, v65
	v_mul_f32_e32 v69, v21, v10
	v_fmac_f32_e32 v8, 0x3f5db3d7, v7
	v_fmac_f32_e32 v26, 0xbf5db3d7, v7
	v_add_f32_e32 v7, v27, v56
	v_fmac_f32_e32 v27, -0.5, v9
	v_fmac_f32_e32 v69, v20, v11
	v_sub_f32_e32 v10, v55, v57
	v_mov_b32_e32 v9, v27
	v_add_f32_e32 v11, v66, v68
	v_mul_f32_e32 v73, v12, v21
	v_fmac_f32_e32 v9, 0xbf5db3d7, v10
	v_fmac_f32_e32 v27, 0x3f5db3d7, v10
	;; [unrolled: 18-line block ×3, first 2 shown]
	v_add_f32_e32 v14, v30, v70
	v_fma_f32 v30, -0.5, v15, v30
	v_fmac_f32_e32 v75, v17, v18
	v_sub_f32_e32 v15, v71, v73
	v_mov_b32_e32 v16, v30
	v_add_f32_e32 v17, v71, v73
	v_fmac_f32_e32 v16, 0x3f5db3d7, v15
	v_fmac_f32_e32 v30, 0xbf5db3d7, v15
	v_add_f32_e32 v15, v31, v71
	v_fmac_f32_e32 v31, -0.5, v17
	v_mul_f32_e32 v21, v34, v21
	v_sub_f32_e32 v18, v70, v72
	v_mov_b32_e32 v17, v31
	v_add_f32_e32 v19, v74, v76
	v_fmac_f32_e32 v21, v35, v20
	v_fmac_f32_e32 v17, 0xbf5db3d7, v18
	v_fmac_f32_e32 v31, 0x3f5db3d7, v18
	v_add_f32_e32 v18, v32, v74
	v_fma_f32 v32, -0.5, v19, v32
	v_sub_f32_e32 v19, v75, v21
	v_mov_b32_e32 v20, v32
	v_fmac_f32_e32 v20, 0x3f5db3d7, v19
	v_fmac_f32_e32 v32, 0xbf5db3d7, v19
	v_add_f32_e32 v19, v33, v75
	v_add_f32_e32 v19, v19, v21
	v_add_f32_e32 v21, v75, v21
	v_fmac_f32_e32 v33, -0.5, v21
	v_sub_f32_e32 v24, v74, v76
	v_mov_b32_e32 v21, v33
	v_fmac_f32_e32 v21, 0xbf5db3d7, v24
	v_fmac_f32_e32 v33, 0x3f5db3d7, v24
	v_lshrrev_b32_e32 v24, 3, v38
	v_mul_u32_u24_e32 v24, 24, v24
	v_or_b32_e32 v24, v24, v43
	v_add_f32_e32 v2, v2, v25
	v_add_f32_e32 v3, v3, v53
	v_lshl_add_u32 v24, v24, 3, 0
	ds_write2_b64 v24, v[2:3], v[4:5] offset1:8
	ds_write_b64 v24, v[22:23] offset:128
	v_lshrrev_b32_e32 v2, 3, v42
	v_mul_lo_u32 v2, v2, 24
	v_add_f32_e32 v6, v6, v57
	v_add_f32_e32 v7, v7, v65
	;; [unrolled: 1-line block ×3, first 2 shown]
	v_or_b32_e32 v2, v2, v43
	v_lshl_add_u32 v2, v2, 3, 0
	ds_write2_b64 v2, v[6:7], v[8:9] offset1:8
	ds_write_b64 v2, v[26:27] offset:128
	v_lshrrev_b32_e32 v2, 3, v51
	v_mul_lo_u32 v2, v2, 24
	v_add_f32_e32 v11, v11, v69
	v_add_f32_e32 v14, v14, v72
	;; [unrolled: 1-line block ×3, first 2 shown]
	v_or_b32_e32 v2, v2, v43
	v_lshl_add_u32 v2, v2, 3, 0
	ds_write2_b64 v2, v[10:11], v[12:13] offset1:8
	ds_write_b64 v2, v[28:29] offset:128
	v_lshrrev_b32_e32 v2, 3, v50
	v_mul_lo_u32 v2, v2, 24
	v_add_f32_e32 v18, v18, v76
	v_mul_lo_u16_sdwa v24, v38, s2 dst_sel:DWORD dst_unused:UNUSED_PAD src0_sel:BYTE_0 src1_sel:DWORD
	v_mov_b32_e32 v57, 5
	v_or_b32_e32 v2, v2, v43
	v_lshl_add_u32 v2, v2, 3, 0
	ds_write2_b64 v2, v[14:15], v[16:17] offset1:8
	ds_write_b64 v2, v[30:31] offset:128
	v_lshrrev_b32_e32 v2, 3, v45
	v_mul_lo_u32 v2, v2, 24
	v_or_b32_e32 v2, v2, v43
	v_lshl_add_u32 v2, v2, 3, 0
	v_add_u32_e32 v43, 0x400, v46
	ds_write2_b64 v2, v[18:19], v[20:21] offset1:8
	ds_write_b64 v2, v[32:33] offset:128
	s_waitcnt lgkmcnt(0)
	; wave barrier
	s_waitcnt lgkmcnt(0)
	ds_read_b64 v[6:7], v46
	ds_read_b64 v[32:33], v62
	;; [unrolled: 1-line block ×3, first 2 shown]
	ds_read2_b64 v[8:11], v54 offset0:192 offset1:248
	ds_read2_b64 v[12:15], v48 offset0:160 offset1:216
	ds_read_b64 v[4:5], v64
	ds_read2_b32 v[52:53], v43 offset0:192 offset1:193
	ds_read2_b64 v[16:19], v54 offset0:24 offset1:136
	ds_read2_b64 v[20:23], v48 offset0:48 offset1:104
	ds_read_b64 v[2:3], v63
	ds_read_b64 v[54:55], v46 offset:6272
	v_lshrrev_b16_e32 v48, 12, v24
	v_mul_lo_u16_e32 v24, 24, v48
	v_sub_u16_e32 v56, v38, v24
	v_lshlrev_b32_sdwa v65, v57, v56 dst_sel:DWORD dst_unused:UNUSED_PAD src0_sel:DWORD src1_sel:BYTE_0
	global_load_dwordx4 v[24:27], v65, s[12:13] offset:192
	global_load_dwordx4 v[28:31], v65, s[12:13] offset:176
	s_waitcnt vmcnt(0) lgkmcnt(9)
	v_mul_f32_e32 v65, v29, v33
	v_mul_f32_e32 v29, v29, v32
	v_fma_f32 v65, v28, v32, -v65
	v_fmac_f32_e32 v29, v28, v33
	s_waitcnt lgkmcnt(8)
	v_mul_f32_e32 v28, v31, v35
	v_mul_f32_e32 v31, v31, v34
	v_fma_f32 v28, v30, v34, -v28
	v_fmac_f32_e32 v31, v30, v35
	s_waitcnt lgkmcnt(7)
	v_mul_f32_e32 v30, v25, v11
	v_fma_f32 v30, v24, v10, -v30
	v_mul_f32_e32 v32, v25, v10
	s_waitcnt lgkmcnt(6)
	v_mul_f32_e32 v10, v27, v13
	v_fma_f32 v33, v26, v12, -v10
	v_mul_lo_u16_sdwa v10, v42, s2 dst_sel:DWORD dst_unused:UNUSED_PAD src0_sel:BYTE_0 src1_sel:DWORD
	v_lshrrev_b16_e32 v35, 12, v10
	v_mul_lo_u16_e32 v10, 24, v35
	v_sub_u16_e32 v66, v42, v10
	v_mul_f32_e32 v34, v27, v12
	v_lshlrev_b32_sdwa v67, v57, v66 dst_sel:DWORD dst_unused:UNUSED_PAD src0_sel:DWORD src1_sel:BYTE_0
	v_fmac_f32_e32 v32, v24, v11
	v_fmac_f32_e32 v34, v26, v13
	global_load_dwordx4 v[10:13], v67, s[12:13] offset:192
	global_load_dwordx4 v[24:27], v67, s[12:13] offset:176
	s_waitcnt vmcnt(1)
	v_mul_f32_e32 v68, v14, v13
	s_waitcnt vmcnt(0) lgkmcnt(4)
	v_mul_f32_e32 v67, v53, v25
	v_mul_f32_e32 v25, v25, v52
	v_fma_f32 v67, v24, v52, -v67
	v_fmac_f32_e32 v25, v53, v24
	s_waitcnt lgkmcnt(3)
	v_mul_f32_e32 v24, v19, v27
	v_fma_f32 v24, v18, v26, -v24
	v_mul_f32_e32 v27, v18, v27
	s_waitcnt lgkmcnt(2)
	v_mul_f32_e32 v18, v21, v11
	v_mul_f32_e32 v52, v20, v11
	v_fmac_f32_e32 v27, v19, v26
	v_fma_f32 v26, v20, v10, -v18
	v_fmac_f32_e32 v52, v21, v10
	v_mul_f32_e32 v10, v15, v13
	v_fma_f32 v53, v14, v12, -v10
	v_mul_lo_u16_sdwa v10, v51, s2 dst_sel:DWORD dst_unused:UNUSED_PAD src0_sel:BYTE_0 src1_sel:DWORD
	v_lshrrev_b16_e32 v69, 12, v10
	v_mul_lo_u16_e32 v10, 24, v69
	v_sub_u16_e32 v70, v51, v10
	v_lshlrev_b32_sdwa v14, v57, v70 dst_sel:DWORD dst_unused:UNUSED_PAD src0_sel:DWORD src1_sel:BYTE_0
	v_fmac_f32_e32 v68, v15, v12
	global_load_dwordx4 v[10:13], v14, s[12:13] offset:192
	global_load_dwordx4 v[18:21], v14, s[12:13] offset:176
	v_sub_f32_e32 v15, v30, v33
	s_waitcnt lgkmcnt(0)
	; wave barrier
	s_waitcnt lgkmcnt(0)
	v_cmp_gt_u32_e64 s[2:3], 8, v38
	s_waitcnt vmcnt(1)
	v_mul_f32_e32 v75, v22, v11
	s_waitcnt vmcnt(0)
	v_mul_f32_e32 v14, v17, v19
	v_fma_f32 v57, v16, v18, -v14
	v_mul_f32_e32 v14, v9, v21
	v_fma_f32 v72, v8, v20, -v14
	v_mul_f32_e32 v73, v8, v21
	v_mul_f32_e32 v8, v23, v11
	v_fmac_f32_e32 v73, v9, v20
	v_fma_f32 v74, v22, v10, -v8
	v_mul_f32_e32 v8, v55, v13
	v_add_f32_e32 v9, v28, v30
	v_fmac_f32_e32 v75, v23, v10
	v_fma_f32 v76, v54, v12, -v8
	v_mul_f32_e32 v54, v54, v13
	v_fma_f32 v10, -0.5, v9, v6
	v_fmac_f32_e32 v54, v55, v12
	v_sub_f32_e32 v9, v29, v34
	v_mov_b32_e32 v12, v10
	v_fmac_f32_e32 v12, 0x3f737871, v9
	v_sub_f32_e32 v11, v31, v32
	v_sub_f32_e32 v13, v65, v28
	;; [unrolled: 1-line block ×3, first 2 shown]
	v_fmac_f32_e32 v10, 0xbf737871, v9
	v_fmac_f32_e32 v12, 0x3f167918, v11
	v_add_f32_e32 v13, v13, v14
	v_fmac_f32_e32 v10, 0xbf167918, v11
	v_fmac_f32_e32 v12, 0x3e9e377a, v13
	;; [unrolled: 1-line block ×3, first 2 shown]
	v_add_f32_e32 v13, v65, v33
	v_add_f32_e32 v8, v6, v65
	v_fma_f32 v6, -0.5, v13, v6
	v_mov_b32_e32 v14, v6
	v_fmac_f32_e32 v14, 0xbf737871, v11
	v_sub_f32_e32 v13, v28, v65
	v_fmac_f32_e32 v6, 0x3f737871, v11
	v_add_f32_e32 v11, v31, v32
	v_fmac_f32_e32 v14, 0x3f167918, v9
	v_add_f32_e32 v13, v13, v15
	v_fmac_f32_e32 v6, 0xbf167918, v9
	v_fma_f32 v11, -0.5, v11, v7
	v_mul_f32_e32 v71, v16, v19
	v_fmac_f32_e32 v14, 0x3e9e377a, v13
	v_fmac_f32_e32 v6, 0x3e9e377a, v13
	v_sub_f32_e32 v16, v65, v33
	v_mov_b32_e32 v13, v11
	v_fmac_f32_e32 v71, v17, v18
	v_fmac_f32_e32 v13, 0xbf737871, v16
	v_sub_f32_e32 v17, v28, v30
	v_sub_f32_e32 v15, v29, v31
	;; [unrolled: 1-line block ×3, first 2 shown]
	v_fmac_f32_e32 v11, 0x3f737871, v16
	v_fmac_f32_e32 v13, 0xbf167918, v17
	v_add_f32_e32 v15, v15, v18
	v_fmac_f32_e32 v11, 0x3f167918, v17
	v_fmac_f32_e32 v13, 0x3e9e377a, v15
	;; [unrolled: 1-line block ×3, first 2 shown]
	v_add_f32_e32 v15, v29, v34
	v_add_f32_e32 v9, v7, v29
	v_fmac_f32_e32 v7, -0.5, v15
	v_mov_b32_e32 v15, v7
	v_fmac_f32_e32 v15, 0x3f737871, v17
	v_sub_f32_e32 v18, v31, v29
	v_sub_f32_e32 v19, v32, v34
	v_fmac_f32_e32 v7, 0xbf737871, v17
	v_fmac_f32_e32 v15, 0xbf167918, v16
	v_add_f32_e32 v18, v18, v19
	v_fmac_f32_e32 v7, 0x3f167918, v16
	v_add_f32_e32 v17, v24, v26
	v_fmac_f32_e32 v15, 0x3e9e377a, v18
	v_fmac_f32_e32 v7, 0x3e9e377a, v18
	v_fma_f32 v18, -0.5, v17, v4
	v_sub_f32_e32 v17, v25, v68
	v_mov_b32_e32 v20, v18
	v_fmac_f32_e32 v20, 0x3f737871, v17
	v_sub_f32_e32 v19, v27, v52
	v_sub_f32_e32 v21, v67, v24
	;; [unrolled: 1-line block ×3, first 2 shown]
	v_fmac_f32_e32 v18, 0xbf737871, v17
	v_fmac_f32_e32 v20, 0x3f167918, v19
	v_add_f32_e32 v21, v21, v22
	v_fmac_f32_e32 v18, 0xbf167918, v19
	v_fmac_f32_e32 v20, 0x3e9e377a, v21
	v_fmac_f32_e32 v18, 0x3e9e377a, v21
	v_add_f32_e32 v21, v67, v53
	v_add_f32_e32 v16, v4, v67
	v_fma_f32 v4, -0.5, v21, v4
	v_mov_b32_e32 v22, v4
	v_fmac_f32_e32 v22, 0xbf737871, v19
	v_sub_f32_e32 v21, v24, v67
	v_sub_f32_e32 v23, v26, v53
	v_fmac_f32_e32 v4, 0x3f737871, v19
	v_add_f32_e32 v19, v27, v52
	v_fmac_f32_e32 v22, 0x3f167918, v17
	v_add_f32_e32 v21, v21, v23
	v_fmac_f32_e32 v4, 0xbf167918, v17
	v_fma_f32 v19, -0.5, v19, v5
	v_add_f32_e32 v8, v8, v28
	v_add_f32_e32 v16, v16, v24
	v_fmac_f32_e32 v22, 0x3e9e377a, v21
	v_fmac_f32_e32 v4, 0x3e9e377a, v21
	v_sub_f32_e32 v28, v67, v53
	v_mov_b32_e32 v21, v19
	v_add_f32_e32 v16, v16, v26
	v_fmac_f32_e32 v21, 0xbf737871, v28
	v_sub_f32_e32 v24, v24, v26
	v_sub_f32_e32 v23, v25, v27
	;; [unrolled: 1-line block ×3, first 2 shown]
	v_fmac_f32_e32 v19, 0x3f737871, v28
	v_fmac_f32_e32 v21, 0xbf167918, v24
	v_add_f32_e32 v23, v23, v26
	v_fmac_f32_e32 v19, 0x3f167918, v24
	v_fmac_f32_e32 v21, 0x3e9e377a, v23
	v_fmac_f32_e32 v19, 0x3e9e377a, v23
	v_add_f32_e32 v23, v25, v68
	v_add_f32_e32 v17, v5, v25
	v_fmac_f32_e32 v5, -0.5, v23
	v_mov_b32_e32 v23, v5
	v_fmac_f32_e32 v23, 0x3f737871, v24
	v_sub_f32_e32 v25, v27, v25
	v_sub_f32_e32 v26, v52, v68
	v_fmac_f32_e32 v5, 0xbf737871, v24
	v_fmac_f32_e32 v23, 0xbf167918, v28
	v_add_f32_e32 v25, v25, v26
	v_fmac_f32_e32 v5, 0x3f167918, v28
	v_add_f32_e32 v17, v17, v27
	v_fmac_f32_e32 v23, 0x3e9e377a, v25
	v_fmac_f32_e32 v5, 0x3e9e377a, v25
	v_add_f32_e32 v25, v72, v74
	v_add_f32_e32 v17, v17, v52
	v_fma_f32 v52, -0.5, v25, v2
	v_sub_f32_e32 v25, v71, v54
	v_mov_b32_e32 v26, v52
	v_fmac_f32_e32 v26, 0x3f737871, v25
	v_sub_f32_e32 v27, v73, v75
	v_sub_f32_e32 v28, v57, v72
	v_sub_f32_e32 v29, v76, v74
	v_fmac_f32_e32 v52, 0xbf737871, v25
	v_fmac_f32_e32 v26, 0x3f167918, v27
	v_add_f32_e32 v28, v28, v29
	v_fmac_f32_e32 v52, 0xbf167918, v27
	v_fmac_f32_e32 v26, 0x3e9e377a, v28
	;; [unrolled: 1-line block ×3, first 2 shown]
	v_add_f32_e32 v28, v57, v76
	v_add_f32_e32 v24, v2, v57
	v_fma_f32 v2, -0.5, v28, v2
	v_mov_b32_e32 v28, v2
	v_fmac_f32_e32 v28, 0xbf737871, v27
	v_fmac_f32_e32 v2, 0x3f737871, v27
	v_add_f32_e32 v27, v73, v75
	v_add_f32_e32 v8, v8, v30
	;; [unrolled: 1-line block ×3, first 2 shown]
	v_sub_f32_e32 v29, v72, v57
	v_sub_f32_e32 v30, v74, v76
	v_fma_f32 v53, -0.5, v27, v3
	v_add_f32_e32 v9, v9, v31
	v_fmac_f32_e32 v28, 0x3f167918, v25
	v_add_f32_e32 v29, v29, v30
	v_fmac_f32_e32 v2, 0xbf167918, v25
	v_sub_f32_e32 v30, v57, v76
	v_mov_b32_e32 v27, v53
	v_add_f32_e32 v9, v9, v32
	v_fmac_f32_e32 v28, 0x3e9e377a, v29
	v_fmac_f32_e32 v2, 0x3e9e377a, v29
	;; [unrolled: 1-line block ×3, first 2 shown]
	v_sub_f32_e32 v31, v72, v74
	v_sub_f32_e32 v29, v71, v73
	;; [unrolled: 1-line block ×3, first 2 shown]
	v_fmac_f32_e32 v53, 0x3f737871, v30
	v_fmac_f32_e32 v27, 0xbf167918, v31
	v_add_f32_e32 v29, v29, v32
	v_fmac_f32_e32 v53, 0x3f167918, v31
	v_fmac_f32_e32 v27, 0x3e9e377a, v29
	;; [unrolled: 1-line block ×3, first 2 shown]
	v_add_f32_e32 v29, v71, v54
	v_add_f32_e32 v25, v3, v71
	v_fmac_f32_e32 v3, -0.5, v29
	v_mov_b32_e32 v29, v3
	v_add_f32_e32 v8, v8, v33
	v_fmac_f32_e32 v29, 0x3f737871, v31
	v_sub_f32_e32 v32, v73, v71
	v_sub_f32_e32 v33, v75, v54
	v_fmac_f32_e32 v3, 0xbf737871, v31
	v_fmac_f32_e32 v29, 0xbf167918, v30
	v_add_f32_e32 v32, v32, v33
	v_fmac_f32_e32 v3, 0x3f167918, v30
	v_mov_b32_e32 v31, 3
	v_fmac_f32_e32 v29, 0x3e9e377a, v32
	v_fmac_f32_e32 v3, 0x3e9e377a, v32
	v_mul_u32_u24_e32 v30, 0x3c0, v48
	v_lshlrev_b32_sdwa v32, v31, v56 dst_sel:DWORD dst_unused:UNUSED_PAD src0_sel:DWORD src1_sel:BYTE_0
	v_add_f32_e32 v9, v9, v34
	v_add3_u32 v30, 0, v30, v32
	ds_write2_b64 v30, v[8:9], v[12:13] offset1:24
	ds_write2_b64 v30, v[14:15], v[6:7] offset0:48 offset1:72
	ds_write_b64 v30, v[10:11] offset:768
	v_mul_u32_u24_e32 v6, 0x3c0, v35
	v_lshlrev_b32_sdwa v7, v31, v66 dst_sel:DWORD dst_unused:UNUSED_PAD src0_sel:DWORD src1_sel:BYTE_0
	v_add_f32_e32 v17, v17, v68
	v_add_f32_e32 v24, v24, v72
	v_add_f32_e32 v25, v25, v73
	v_add3_u32 v6, 0, v6, v7
	v_add_f32_e32 v24, v24, v74
	v_add_f32_e32 v25, v25, v75
	ds_write2_b64 v6, v[16:17], v[20:21] offset1:24
	ds_write2_b64 v6, v[22:23], v[4:5] offset0:48 offset1:72
	ds_write_b64 v6, v[18:19] offset:768
	v_mul_u32_u24_e32 v4, 0x3c0, v69
	v_lshlrev_b32_sdwa v5, v31, v70 dst_sel:DWORD dst_unused:UNUSED_PAD src0_sel:DWORD src1_sel:BYTE_0
	v_add_f32_e32 v24, v24, v76
	v_add_f32_e32 v25, v25, v54
	v_add3_u32 v4, 0, v4, v5
	ds_write2_b64 v4, v[24:25], v[26:27] offset1:24
	ds_write2_b64 v4, v[28:29], v[2:3] offset0:48 offset1:72
	ds_write_b64 v4, v[52:53] offset:768
	v_add_u32_e32 v2, 0x140, v46
	s_waitcnt lgkmcnt(0)
	; wave barrier
	s_waitcnt lgkmcnt(0)
	ds_read2_b64 v[12:15], v46 offset1:120
	ds_read2_b64 v[32:35], v46 offset0:176 offset1:240
	ds_read2st64_b64 v[28:31], v2 offset0:4 offset1:5
	v_add_u32_e32 v2, 0x100, v46
	ds_read2st64_b64 v[24:27], v2 offset0:6 offset1:7
	v_add_u32_e32 v2, 0xc0, v46
	;; [unrolled: 2-line block ×3, first 2 shown]
	ds_read2st64_b64 v[16:19], v2 offset0:10 offset1:11
	ds_read_b64 v[54:55], v64
	ds_read_b64 v[56:57], v46 offset:6208
                                        ; implicit-def: $vgpr7
                                        ; implicit-def: $vgpr11
	s_and_saveexec_b64 s[4:5], s[2:3]
	s_cbranch_execz .LBB0_25
; %bb.24:
	v_add_u32_e32 v4, 0xc00, v46
	v_add_u32_e32 v8, 0x1400, v46
	ds_read_b64 v[52:53], v63
	ds_read2_b64 v[0:3], v43 offset0:104 offset1:224
	ds_read2_b64 v[4:7], v4 offset0:88 offset1:208
	;; [unrolled: 1-line block ×3, first 2 shown]
.LBB0_25:
	s_or_b64 exec, exec, s[4:5]
	v_mul_u32_u24_e32 v48, 6, v38
	v_lshlrev_b32_e32 v48, 3, v48
	global_load_dwordx4 v[65:68], v48, s[12:13] offset:976
	global_load_dwordx4 v[69:72], v48, s[12:13] offset:960
	;; [unrolled: 1-line block ×3, first 2 shown]
	s_mov_b32 s8, 0x3f5ff5aa
	s_mov_b32 s9, 0x3f3bfb3b
	;; [unrolled: 1-line block ×4, first 2 shown]
	s_waitcnt vmcnt(2) lgkmcnt(2)
	v_mul_f32_e32 v79, v68, v18
	v_fmac_f32_e32 v79, v67, v19
	s_waitcnt vmcnt(0)
	v_mul_f32_e32 v48, v74, v15
	v_fma_f32 v48, v73, v14, -v48
	v_mul_f32_e32 v77, v74, v14
	v_mul_f32_e32 v14, v76, v35
	v_fma_f32 v78, v75, v34, -v14
	v_mul_f32_e32 v34, v76, v34
	v_mul_f32_e32 v14, v70, v31
	v_fmac_f32_e32 v34, v75, v35
	v_fma_f32 v35, v69, v30, -v14
	v_mul_f32_e32 v30, v70, v30
	v_mul_f32_e32 v14, v72, v27
	v_fmac_f32_e32 v30, v69, v31
	;; [unrolled: 4-line block ×4, first 2 shown]
	v_fmac_f32_e32 v22, v65, v23
	v_fma_f32 v23, v67, v18, -v14
	v_mul_i32_i24_e32 v14, 6, v42
	v_mov_b32_e32 v15, 0
	v_lshlrev_b64 v[18:19], 3, v[14:15]
	v_mov_b32_e32 v14, s13
	v_add_co_u32_e64 v18, s[4:5], s12, v18
	v_addc_co_u32_e64 v19, s[4:5], v14, v19, s[4:5]
	global_load_dwordx4 v[65:68], v[18:19], off offset:976
	global_load_dwordx4 v[69:72], v[18:19], off offset:960
	;; [unrolled: 1-line block ×3, first 2 shown]
	v_sub_f32_e32 v19, v77, v79
	s_waitcnt lgkmcnt(0)
	; wave barrier
	s_waitcnt vmcnt(0) lgkmcnt(0)
	v_mul_f32_e32 v14, v74, v33
	v_fma_f32 v14, v73, v32, -v14
	v_mul_f32_e32 v32, v74, v32
	v_mul_f32_e32 v18, v76, v29
	v_fmac_f32_e32 v32, v73, v33
	v_fma_f32 v33, v75, v28, -v18
	v_mul_f32_e32 v28, v76, v28
	v_mul_f32_e32 v18, v25, v70
	v_fmac_f32_e32 v28, v75, v29
	;; [unrolled: 4-line block ×5, first 2 shown]
	v_fma_f32 v65, v56, v67, -v16
	v_add_f32_e32 v16, v48, v23
	v_add_f32_e32 v20, v78, v27
	;; [unrolled: 1-line block ×6, first 2 shown]
	v_sub_f32_e32 v26, v26, v30
	v_add_f32_e32 v30, v20, v16
	v_sub_f32_e32 v18, v48, v23
	v_sub_f32_e32 v23, v78, v27
	;; [unrolled: 1-line block ×4, first 2 shown]
	v_add_f32_e32 v31, v21, v17
	v_sub_f32_e32 v34, v20, v16
	v_sub_f32_e32 v16, v16, v24
	;; [unrolled: 1-line block ×3, first 2 shown]
	v_add_f32_e32 v24, v24, v30
	v_mul_f32_e32 v56, v56, v68
	v_sub_f32_e32 v35, v21, v17
	v_sub_f32_e32 v17, v17, v25
	v_sub_f32_e32 v21, v25, v21
	v_add_f32_e32 v25, v25, v31
	v_add_f32_e32 v12, v24, v12
	v_fmac_f32_e32 v56, v57, v67
	v_add_f32_e32 v48, v27, v23
	v_add_f32_e32 v57, v26, v22
	v_sub_f32_e32 v67, v27, v23
	v_sub_f32_e32 v68, v26, v22
	;; [unrolled: 1-line block ×3, first 2 shown]
	v_add_f32_e32 v13, v25, v13
	v_mov_b32_e32 v73, v12
	v_sub_f32_e32 v27, v18, v27
	v_sub_f32_e32 v26, v19, v26
	;; [unrolled: 1-line block ×3, first 2 shown]
	v_add_f32_e32 v18, v48, v18
	v_add_f32_e32 v19, v57, v19
	v_mul_f32_e32 v16, 0x3f4a47b2, v16
	v_mul_f32_e32 v30, 0x3d64c772, v20
	;; [unrolled: 1-line block ×6, first 2 shown]
	v_fmac_f32_e32 v73, 0xbf955555, v24
	v_mov_b32_e32 v24, v13
	v_mul_f32_e32 v17, 0x3f4a47b2, v17
	v_mul_f32_e32 v67, 0x3f5ff5aa, v23
	v_fmac_f32_e32 v24, 0xbf955555, v25
	v_fma_f32 v25, v34, s9, -v30
	v_fma_f32 v30, v35, s9, -v31
	;; [unrolled: 1-line block ×3, first 2 shown]
	v_fmac_f32_e32 v16, 0x3d64c772, v20
	v_fma_f32 v23, v23, s8, -v48
	v_fma_f32 v22, v22, s8, -v57
	v_fmac_f32_e32 v57, 0x3eae86e6, v26
	v_fma_f32 v26, v26, s15, -v68
	v_fma_f32 v20, v35, s14, -v17
	v_fmac_f32_e32 v17, 0x3d64c772, v21
	v_fmac_f32_e32 v48, 0x3eae86e6, v27
	v_fma_f32 v27, v27, s15, -v67
	v_add_f32_e32 v34, v16, v73
	v_add_f32_e32 v30, v30, v24
	;; [unrolled: 1-line block ×3, first 2 shown]
	v_fmac_f32_e32 v57, 0x3ee1c552, v19
	v_fmac_f32_e32 v23, 0x3ee1c552, v18
	;; [unrolled: 1-line block ×3, first 2 shown]
	v_add_f32_e32 v35, v17, v24
	v_add_f32_e32 v25, v25, v73
	;; [unrolled: 1-line block ×3, first 2 shown]
	v_fmac_f32_e32 v48, 0x3ee1c552, v18
	v_fmac_f32_e32 v22, 0x3ee1c552, v19
	;; [unrolled: 1-line block ×3, first 2 shown]
	v_add_f32_e32 v16, v57, v34
	v_add_f32_e32 v18, v26, v31
	;; [unrolled: 1-line block ×3, first 2 shown]
	v_sub_f32_e32 v23, v30, v23
	v_sub_f32_e32 v24, v31, v26
	;; [unrolled: 1-line block ×3, first 2 shown]
	v_add_f32_e32 v30, v14, v65
	v_add_f32_e32 v34, v33, v71
	v_sub_f32_e32 v17, v35, v48
	v_sub_f32_e32 v19, v67, v27
	;; [unrolled: 1-line block ×3, first 2 shown]
	v_add_f32_e32 v22, v22, v25
	v_add_f32_e32 v25, v27, v67
	;; [unrolled: 1-line block ×4, first 2 shown]
	v_sub_f32_e32 v14, v14, v65
	v_add_f32_e32 v35, v28, v66
	v_add_f32_e32 v48, v29, v69
	;; [unrolled: 1-line block ×3, first 2 shown]
	v_sub_f32_e32 v32, v32, v56
	v_sub_f32_e32 v33, v33, v71
	;; [unrolled: 1-line block ×3, first 2 shown]
	v_add_f32_e32 v56, v70, v72
	v_sub_f32_e32 v29, v69, v29
	v_sub_f32_e32 v57, v72, v70
	v_add_f32_e32 v66, v35, v31
	v_sub_f32_e32 v67, v34, v30
	v_sub_f32_e32 v30, v30, v48
	v_sub_f32_e32 v34, v48, v34
	v_add_f32_e32 v48, v48, v65
	v_sub_f32_e32 v68, v35, v31
	;; [unrolled: 4-line block ×3, first 2 shown]
	v_sub_f32_e32 v72, v57, v28
	v_sub_f32_e32 v74, v28, v32
	v_add_f32_e32 v56, v56, v66
	v_add_f32_e32 v28, v48, v54
	;; [unrolled: 1-line block ×3, first 2 shown]
	v_sub_f32_e32 v73, v14, v29
	v_sub_f32_e32 v33, v33, v14
	v_add_f32_e32 v29, v56, v55
	v_mul_f32_e32 v66, 0xbf08b237, v71
	v_mov_b32_e32 v71, v28
	v_sub_f32_e32 v57, v32, v57
	v_add_f32_e32 v14, v69, v14
	v_add_f32_e32 v32, v70, v32
	v_mul_f32_e32 v30, 0x3f4a47b2, v30
	v_mul_f32_e32 v31, 0x3f4a47b2, v31
	;; [unrolled: 1-line block ×7, first 2 shown]
	v_fmac_f32_e32 v71, 0xbf955555, v48
	v_mov_b32_e32 v48, v29
	v_fmac_f32_e32 v48, 0xbf955555, v56
	v_fma_f32 v54, v67, s9, -v54
	v_fma_f32 v55, v68, s9, -v55
	v_fma_f32 v56, v67, s14, -v30
	v_fmac_f32_e32 v30, 0x3d64c772, v34
	v_fma_f32 v34, v68, s14, -v31
	v_fmac_f32_e32 v31, 0x3d64c772, v35
	v_fma_f32 v67, v33, s8, -v66
	;; [unrolled: 2-line block ×4, first 2 shown]
	v_fma_f32 v57, v57, s15, -v70
	v_add_f32_e32 v70, v30, v71
	v_add_f32_e32 v72, v31, v48
	;; [unrolled: 1-line block ×6, first 2 shown]
	v_fmac_f32_e32 v66, 0x3ee1c552, v14
	v_fmac_f32_e32 v65, 0x3ee1c552, v32
	;; [unrolled: 1-line block ×6, first 2 shown]
	ds_write2_b64 v46, v[12:13], v[16:17] offset1:120
	ds_write2_b64 v43, v[18:19], v[20:21] offset0:112 offset1:232
	v_add_u32_e32 v12, 0xc00, v46
	v_add_f32_e32 v30, v65, v70
	v_sub_f32_e32 v31, v72, v66
	v_add_f32_e32 v32, v57, v56
	v_sub_f32_e32 v33, v48, v69
	v_sub_f32_e32 v34, v54, v68
	v_add_f32_e32 v35, v67, v55
	ds_write2_b64 v12, v[22:23], v[24:25] offset0:96 offset1:216
	ds_write_b64 v46, v[26:27] offset:5760
	ds_write2_b64 v64, v[28:29], v[30:31] offset1:120
	v_add_u32_e32 v12, 0x400, v64
	v_add_f32_e32 v54, v68, v54
	v_sub_f32_e32 v55, v55, v67
	v_sub_f32_e32 v56, v56, v57
	v_add_f32_e32 v57, v69, v48
	ds_write2_b64 v12, v[32:33], v[34:35] offset0:112 offset1:232
	v_add_u32_e32 v12, 0xc00, v64
	v_sub_f32_e32 v65, v70, v65
	v_add_f32_e32 v66, v66, v72
	ds_write2_b64 v12, v[54:55], v[56:57] offset0:96 offset1:216
	ds_write_b64 v64, v[65:66] offset:5760
	s_and_saveexec_b64 s[4:5], s[2:3]
	s_cbranch_execz .LBB0_27
; %bb.26:
	v_add_u32_e32 v12, -8, v38
	v_cndmask_b32_e64 v12, v12, v51, s[2:3]
	v_mul_i32_i24_e32 v14, 6, v12
	v_lshlrev_b64 v[12:13], 3, v[14:15]
	v_mov_b32_e32 v14, s13
	v_add_co_u32_e64 v24, s[2:3], s12, v12
	v_addc_co_u32_e64 v25, s[2:3], v14, v13, s[2:3]
	global_load_dwordx4 v[12:15], v[24:25], off offset:944
	global_load_dwordx4 v[16:19], v[24:25], off offset:976
	;; [unrolled: 1-line block ×3, first 2 shown]
	s_waitcnt vmcnt(2)
	v_mul_f32_e32 v24, v1, v13
	s_waitcnt vmcnt(1)
	v_mul_f32_e32 v25, v11, v19
	;; [unrolled: 2-line block ×3, first 2 shown]
	v_mul_f32_e32 v27, v5, v21
	v_mul_f32_e32 v28, v3, v15
	;; [unrolled: 1-line block ×9, first 2 shown]
	v_fma_f32 v0, v0, v12, -v24
	v_fma_f32 v10, v10, v18, -v25
	;; [unrolled: 1-line block ×6, first 2 shown]
	v_fmac_f32_e32 v19, v11, v18
	v_fmac_f32_e32 v13, v1, v12
	;; [unrolled: 1-line block ×6, first 2 shown]
	v_sub_f32_e32 v1, v0, v10
	v_sub_f32_e32 v3, v6, v4
	;; [unrolled: 1-line block ×3, first 2 shown]
	v_add_f32_e32 v7, v13, v19
	v_add_f32_e32 v9, v21, v23
	;; [unrolled: 1-line block ×6, first 2 shown]
	v_sub_f32_e32 v6, v13, v19
	v_sub_f32_e32 v8, v15, v17
	;; [unrolled: 1-line block ×4, first 2 shown]
	v_add_f32_e32 v3, v3, v5
	v_sub_f32_e32 v14, v7, v9
	v_add_f32_e32 v16, v11, v7
	v_sub_f32_e32 v17, v10, v0
	;; [unrolled: 2-line block ×3, first 2 shown]
	v_sub_f32_e32 v15, v9, v11
	v_sub_f32_e32 v22, v5, v1
	;; [unrolled: 1-line block ×3, first 2 shown]
	v_mul_f32_e32 v11, 0xbf08b237, v13
	v_add_f32_e32 v13, v3, v1
	v_mul_f32_e32 v3, 0x3f4a47b2, v14
	v_add_f32_e32 v5, v9, v16
	;; [unrolled: 2-line block ×3, first 2 shown]
	v_sub_f32_e32 v18, v0, v4
	v_sub_f32_e32 v20, v6, v2
	;; [unrolled: 1-line block ×3, first 2 shown]
	v_add_f32_e32 v2, v2, v8
	v_mov_b32_e32 v24, v3
	v_add_f32_e32 v0, v52, v17
	v_mul_f32_e32 v14, 0x3d64c772, v15
	v_mul_f32_e32 v19, 0xbf08b237, v21
	v_add_f32_e32 v21, v2, v6
	v_mul_f32_e32 v2, 0x3f5ff5aa, v22
	v_mov_b32_e32 v23, v11
	v_add_f32_e32 v1, v53, v5
	v_mov_b32_e32 v25, v9
	v_fmac_f32_e32 v24, 0x3d64c772, v15
	v_mov_b32_e32 v15, v0
	v_sub_f32_e32 v10, v4, v10
	v_mov_b32_e32 v26, v19
	v_fma_f32 v27, v12, s15, -v2
	v_fmac_f32_e32 v23, 0x3eae86e6, v12
	v_mov_b32_e32 v12, v1
	v_fmac_f32_e32 v25, 0x3d64c772, v18
	v_fmac_f32_e32 v15, 0xbf955555, v17
	v_fma_f32 v4, v10, s14, -v9
	v_sub_f32_e32 v6, v8, v6
	v_mul_f32_e32 v16, 0x3d64c772, v18
	v_fmac_f32_e32 v26, 0x3eae86e6, v20
	v_fmac_f32_e32 v12, 0xbf955555, v5
	v_add_f32_e32 v18, v25, v15
	v_add_f32_e32 v25, v4, v15
	v_mul_f32_e32 v4, 0x3f5ff5aa, v6
	v_fma_f32 v28, v7, s14, -v3
	v_fmac_f32_e32 v23, 0x3ee1c552, v13
	v_fmac_f32_e32 v26, 0x3ee1c552, v21
	v_add_f32_e32 v17, v24, v12
	v_fma_f32 v20, v20, s15, -v4
	v_fma_f32 v7, v7, s9, -v14
	v_fma_f32 v9, v22, s8, -v11
	v_fma_f32 v11, v6, s8, -v19
	v_fma_f32 v6, v10, s9, -v16
	v_fmac_f32_e32 v27, 0x3ee1c552, v13
	v_add_f32_e32 v24, v28, v12
	v_fmac_f32_e32 v20, 0x3ee1c552, v21
	v_add_f32_e32 v8, v7, v12
	v_fmac_f32_e32 v9, 0x3ee1c552, v13
	v_fmac_f32_e32 v11, 0x3ee1c552, v21
	v_add_f32_e32 v10, v6, v15
	v_sub_f32_e32 v13, v17, v23
	v_add_f32_e32 v12, v26, v18
	v_sub_f32_e32 v7, v8, v9
	v_add_f32_e32 v6, v11, v10
	v_add_f32_e32 v9, v9, v8
	v_sub_f32_e32 v8, v10, v11
	v_sub_f32_e32 v11, v24, v27
	v_add_f32_e32 v10, v20, v25
	ds_write2_b64 v46, v[0:1], v[12:13] offset0:112 offset1:232
	v_add_u32_e32 v0, 0x800, v46
	v_add_f32_e32 v5, v27, v24
	v_sub_f32_e32 v4, v25, v20
	ds_write2_b64 v0, v[10:11], v[8:9] offset0:96 offset1:216
	v_add_u32_e32 v0, 0x1000, v46
	v_add_f32_e32 v3, v23, v17
	v_sub_f32_e32 v2, v18, v26
	ds_write2_b64 v0, v[6:7], v[4:5] offset0:80 offset1:200
	ds_write_b64 v46, v[2:3] offset:6656
.LBB0_27:
	s_or_b64 exec, exec, s[4:5]
	s_waitcnt lgkmcnt(0)
	; wave barrier
	s_waitcnt lgkmcnt(0)
	ds_read_b64 v[2:3], v46
	s_add_u32 s8, s12, 0x1a30
	s_addc_u32 s9, s13, 0
	v_sub_u32_e32 v4, 0, v39
	v_cmp_ne_u32_e64 s[2:3], 0, v38
                                        ; implicit-def: $vgpr1
                                        ; implicit-def: $vgpr5
	s_and_saveexec_b64 s[4:5], s[2:3]
	s_xor_b64 s[4:5], exec, s[4:5]
	s_cbranch_execz .LBB0_29
; %bb.28:
	v_mov_b32_e32 v39, 0
	v_lshlrev_b64 v[0:1], 3, v[38:39]
	v_mov_b32_e32 v5, s9
	v_add_co_u32_e64 v0, s[2:3], s8, v0
	v_addc_co_u32_e64 v1, s[2:3], v5, v1, s[2:3]
	global_load_dwordx2 v[6:7], v[0:1], off
	ds_read_b64 v[0:1], v4 offset:6720
	s_waitcnt lgkmcnt(0)
	v_add_f32_e32 v8, v0, v2
	v_sub_f32_e32 v0, v2, v0
	v_add_f32_e32 v5, v1, v3
	v_sub_f32_e32 v1, v3, v1
	v_mul_f32_e32 v3, 0.5, v0
	v_mul_f32_e32 v0, 0.5, v1
	;; [unrolled: 1-line block ×3, first 2 shown]
	s_waitcnt vmcnt(0)
	v_mul_f32_e32 v1, v7, v3
	v_fma_f32 v9, 0.5, v8, v1
	v_fma_f32 v5, v2, v7, v0
	v_fma_f32 v7, v2, v7, -v0
	v_fma_f32 v0, v8, 0.5, -v1
	v_fmac_f32_e32 v9, v6, v2
	v_fma_f32 v5, -v6, v3, v5
	v_fma_f32 v0, -v6, v2, v0
	ds_write_b32 v46, v9
	v_fma_f32 v1, -v6, v3, v7
                                        ; implicit-def: $vgpr2_vgpr3
.LBB0_29:
	s_andn2_saveexec_b64 s[2:3], s[4:5]
	s_cbranch_execz .LBB0_31
; %bb.30:
	v_mov_b32_e32 v5, 0
	ds_read_b32 v1, v5 offset:3364
	s_waitcnt lgkmcnt(1)
	v_add_f32_e32 v6, v2, v3
	v_sub_f32_e32 v0, v2, v3
	ds_write_b32 v46, v6
	s_waitcnt lgkmcnt(1)
	v_xor_b32_e32 v1, 0x80000000, v1
	ds_write_b32 v5, v1 offset:3364
	v_mov_b32_e32 v1, v5
.LBB0_31:
	s_or_b64 exec, exec, s[2:3]
	v_mov_b32_e32 v43, 0
	s_waitcnt lgkmcnt(0)
	v_lshlrev_b64 v[2:3], 3, v[42:43]
	v_mov_b32_e32 v6, s9
	v_add_co_u32_e64 v2, s[2:3], s8, v2
	v_addc_co_u32_e64 v3, s[2:3], v6, v3, s[2:3]
	global_load_dwordx2 v[2:3], v[2:3], off
	v_mov_b32_e32 v52, v43
	v_lshlrev_b64 v[6:7], 3, v[51:52]
	v_mov_b32_e32 v8, s9
	v_add_co_u32_e64 v6, s[2:3], s8, v6
	v_addc_co_u32_e64 v7, s[2:3], v8, v7, s[2:3]
	global_load_dwordx2 v[6:7], v[6:7], off
	v_mov_b32_e32 v51, v43
	v_lshlrev_b64 v[8:9], 3, v[50:51]
	v_mov_b32_e32 v10, s9
	v_add_co_u32_e64 v8, s[2:3], s8, v8
	v_addc_co_u32_e64 v9, s[2:3], v10, v9, s[2:3]
	global_load_dwordx2 v[8:9], v[8:9], off
	ds_write_b32 v46, v5 offset:4
	ds_write_b64 v4, v[0:1] offset:6720
	v_mov_b32_e32 v46, v43
	v_lshlrev_b64 v[12:13], 3, v[45:46]
	v_mov_b32_e32 v5, s9
	v_add_co_u32_e64 v12, s[2:3], s8, v12
	v_addc_co_u32_e64 v13, s[2:3], v5, v13, s[2:3]
	ds_read_b64 v[0:1], v64
	ds_read_b64 v[10:11], v4 offset:6272
	global_load_dwordx2 v[12:13], v[12:13], off
	v_mov_b32_e32 v48, v43
	v_lshlrev_b64 v[14:15], 3, v[47:48]
	v_mov_b32_e32 v18, s9
	s_waitcnt lgkmcnt(0)
	v_add_f32_e32 v5, v0, v10
	v_sub_f32_e32 v0, v0, v10
	v_add_f32_e32 v20, v1, v11
	v_sub_f32_e32 v1, v1, v11
	v_mul_f32_e32 v11, 0.5, v0
	v_mul_f32_e32 v10, 0.5, v20
	;; [unrolled: 1-line block ×3, first 2 shown]
	v_mov_b32_e32 v50, v43
	v_lshlrev_b64 v[16:17], 3, v[49:50]
	v_mov_b32_e32 v19, s9
	s_waitcnt vmcnt(3)
	v_mul_f32_e32 v20, v3, v11
	v_fma_f32 v1, v10, v3, v0
	v_fma_f32 v3, v10, v3, -v0
	v_fma_f32 v0, 0.5, v5, v20
	v_fma_f32 v5, v5, 0.5, -v20
	v_fma_f32 v1, -v2, v11, v1
	v_fma_f32 v3, -v2, v11, v3
	v_fmac_f32_e32 v0, v2, v10
	v_fma_f32 v2, -v2, v10, v5
	v_add_co_u32_e64 v10, s[2:3], s8, v14
	ds_write_b64 v64, v[0:1]
	ds_write_b64 v4, v[2:3] offset:6272
	v_addc_co_u32_e64 v11, s[2:3], v18, v15, s[2:3]
	ds_read_b64 v[0:1], v63
	ds_read_b64 v[2:3], v4 offset:5824
	global_load_dwordx2 v[10:11], v[10:11], off
	s_waitcnt lgkmcnt(0)
	v_add_f32_e32 v5, v0, v2
	v_sub_f32_e32 v0, v0, v2
	v_add_f32_e32 v14, v1, v3
	v_sub_f32_e32 v1, v1, v3
	v_mul_f32_e32 v3, 0.5, v0
	v_mul_f32_e32 v2, 0.5, v14
	;; [unrolled: 1-line block ×3, first 2 shown]
	s_waitcnt vmcnt(3)
	v_mul_f32_e32 v14, v7, v3
	v_fma_f32 v1, v2, v7, v0
	v_fma_f32 v7, v2, v7, -v0
	v_fma_f32 v0, 0.5, v5, v14
	v_fma_f32 v5, v5, 0.5, -v14
	v_fma_f32 v1, -v6, v3, v1
	v_fmac_f32_e32 v0, v6, v2
	v_fma_f32 v2, -v6, v2, v5
	v_add_co_u32_e64 v5, s[2:3], s8, v16
	v_fma_f32 v3, -v6, v3, v7
	ds_write_b64 v63, v[0:1]
	ds_write_b64 v4, v[2:3] offset:5824
	v_addc_co_u32_e64 v6, s[2:3], v19, v17, s[2:3]
	ds_read_b64 v[0:1], v62
	ds_read_b64 v[2:3], v4 offset:5376
	global_load_dwordx2 v[5:6], v[5:6], off
	s_waitcnt lgkmcnt(0)
	v_add_f32_e32 v7, v0, v2
	v_sub_f32_e32 v0, v0, v2
	v_add_f32_e32 v14, v1, v3
	v_sub_f32_e32 v1, v1, v3
	v_mul_f32_e32 v3, 0.5, v0
	v_mul_f32_e32 v2, 0.5, v14
	;; [unrolled: 1-line block ×3, first 2 shown]
	s_waitcnt vmcnt(3)
	v_mul_f32_e32 v14, v9, v3
	v_fma_f32 v1, v2, v9, v0
	v_fma_f32 v9, v2, v9, -v0
	v_fma_f32 v0, 0.5, v7, v14
	v_fma_f32 v1, -v8, v3, v1
	v_fma_f32 v7, v7, 0.5, -v14
	v_fmac_f32_e32 v0, v8, v2
	v_fma_f32 v3, -v8, v3, v9
	v_fma_f32 v2, -v8, v2, v7
	ds_write_b64 v62, v[0:1]
	ds_write_b64 v4, v[2:3] offset:5376
	ds_read_b64 v[0:1], v61
	ds_read_b64 v[2:3], v4 offset:4928
	s_waitcnt lgkmcnt(0)
	v_add_f32_e32 v7, v0, v2
	v_sub_f32_e32 v0, v0, v2
	v_add_f32_e32 v8, v1, v3
	v_sub_f32_e32 v1, v1, v3
	v_mul_f32_e32 v3, 0.5, v0
	v_mul_f32_e32 v2, 0.5, v8
	v_mul_f32_e32 v8, 0.5, v1
	s_waitcnt vmcnt(2)
	v_mul_f32_e32 v9, v13, v3
	v_fma_f32 v0, 0.5, v7, v9
	v_fma_f32 v1, v2, v13, v8
	v_fmac_f32_e32 v0, v12, v2
	v_fma_f32 v1, -v12, v3, v1
	ds_write_b64 v61, v[0:1]
	v_fma_f32 v0, v7, 0.5, -v9
	v_fma_f32 v1, v2, v13, -v8
	v_fma_f32 v0, -v12, v2, v0
	v_fma_f32 v1, -v12, v3, v1
	ds_write_b64 v4, v[0:1] offset:4928
	ds_read_b64 v[0:1], v60
	ds_read_b64 v[2:3], v4 offset:4480
	s_waitcnt lgkmcnt(0)
	v_add_f32_e32 v7, v0, v2
	v_sub_f32_e32 v0, v0, v2
	v_add_f32_e32 v8, v1, v3
	v_sub_f32_e32 v1, v1, v3
	v_mul_f32_e32 v2, 0.5, v0
	v_mul_f32_e32 v8, 0.5, v8
	v_mul_f32_e32 v3, 0.5, v1
	s_waitcnt vmcnt(1)
	v_mul_f32_e32 v9, v11, v2
	v_fma_f32 v0, 0.5, v7, v9
	v_fma_f32 v1, v8, v11, v3
	v_fmac_f32_e32 v0, v10, v8
	v_fma_f32 v1, -v10, v2, v1
	ds_write_b64 v60, v[0:1]
	v_fma_f32 v0, v7, 0.5, -v9
	v_fma_f32 v1, v8, v11, -v3
	v_fma_f32 v0, -v10, v8, v0
	v_fma_f32 v1, -v10, v2, v1
	;; [unrolled: 22-line block ×3, first 2 shown]
	ds_write_b64 v4, v[0:1] offset:4032
	s_and_saveexec_b64 s[2:3], vcc
	s_cbranch_execz .LBB0_33
; %bb.32:
	v_mov_b32_e32 v45, v43
	v_lshlrev_b64 v[0:1], 3, v[44:45]
	v_mov_b32_e32 v2, s9
	v_add_co_u32_e32 v0, vcc, s8, v0
	v_addc_co_u32_e32 v1, vcc, v2, v1, vcc
	global_load_dwordx2 v[0:1], v[0:1], off
	ds_read_b64 v[2:3], v58
	ds_read_b64 v[5:6], v4 offset:3584
	s_waitcnt lgkmcnt(0)
	v_add_f32_e32 v7, v2, v5
	v_sub_f32_e32 v2, v2, v5
	v_add_f32_e32 v8, v3, v6
	v_sub_f32_e32 v3, v3, v6
	v_mul_f32_e32 v6, 0.5, v2
	v_mul_f32_e32 v5, 0.5, v8
	v_mul_f32_e32 v2, 0.5, v3
	s_waitcnt vmcnt(0)
	v_mul_f32_e32 v3, v1, v6
	v_fma_f32 v8, v5, v1, v2
	v_fma_f32 v9, v5, v1, -v2
	v_fma_f32 v1, 0.5, v7, v3
	v_fma_f32 v2, -v0, v6, v8
	v_fma_f32 v3, v7, 0.5, -v3
	v_fmac_f32_e32 v1, v0, v5
	v_fma_f32 v6, -v0, v6, v9
	v_fma_f32 v5, -v0, v5, v3
	ds_write_b64 v58, v[1:2]
	ds_write_b64 v4, v[5:6] offset:3584
.LBB0_33:
	s_or_b64 exec, exec, s[2:3]
	s_waitcnt lgkmcnt(0)
	; wave barrier
	s_waitcnt lgkmcnt(0)
	s_and_saveexec_b64 s[2:3], s[0:1]
	s_cbranch_execz .LBB0_36
; %bb.34:
	v_mul_lo_u32 v2, s7, v40
	v_mul_lo_u32 v3, s6, v41
	v_mad_u64_u32 v[0:1], s[0:1], s6, v40, 0
	v_mov_b32_e32 v6, s11
	v_lshl_add_u32 v8, v38, 3, 0
	v_add3_u32 v1, v1, v3, v2
	v_lshlrev_b64 v[0:1], 3, v[0:1]
	v_mov_b32_e32 v39, 0
	v_add_co_u32_e32 v0, vcc, s10, v0
	v_addc_co_u32_e32 v9, vcc, v6, v1, vcc
	v_lshlrev_b64 v[6:7], 3, v[36:37]
	ds_read2_b64 v[2:5], v8 offset1:56
	v_add_co_u32_e32 v1, vcc, v0, v6
	v_addc_co_u32_e32 v0, vcc, v9, v7, vcc
	v_lshlrev_b64 v[6:7], 3, v[38:39]
	v_add_u32_e32 v9, 0x800, v8
	v_add_co_u32_e32 v6, vcc, v1, v6
	v_addc_co_u32_e32 v7, vcc, v0, v7, vcc
	s_waitcnt lgkmcnt(0)
	global_store_dwordx2 v[6:7], v[2:3], off
	v_add_u32_e32 v2, 56, v38
	v_mov_b32_e32 v3, v39
	v_lshlrev_b64 v[2:3], 3, v[2:3]
	v_add_u32_e32 v6, 0x70, v38
	v_add_co_u32_e32 v2, vcc, v1, v2
	v_addc_co_u32_e32 v3, vcc, v0, v3, vcc
	global_store_dwordx2 v[2:3], v[4:5], off
	v_mov_b32_e32 v7, v39
	ds_read2_b64 v[2:5], v8 offset0:112 offset1:168
	v_lshlrev_b64 v[6:7], 3, v[6:7]
	v_add_co_u32_e32 v6, vcc, v1, v6
	v_addc_co_u32_e32 v7, vcc, v0, v7, vcc
	s_waitcnt lgkmcnt(0)
	global_store_dwordx2 v[6:7], v[2:3], off
	v_add_u32_e32 v2, 0xa8, v38
	v_mov_b32_e32 v3, v39
	v_lshlrev_b64 v[2:3], 3, v[2:3]
	v_add_u32_e32 v6, 0xe0, v38
	v_add_co_u32_e32 v2, vcc, v1, v2
	v_addc_co_u32_e32 v3, vcc, v0, v3, vcc
	global_store_dwordx2 v[2:3], v[4:5], off
	v_add_u32_e32 v2, 0x400, v8
	v_mov_b32_e32 v7, v39
	ds_read2_b64 v[2:5], v2 offset0:96 offset1:152
	v_lshlrev_b64 v[6:7], 3, v[6:7]
	v_add_co_u32_e32 v6, vcc, v1, v6
	v_addc_co_u32_e32 v7, vcc, v0, v7, vcc
	s_waitcnt lgkmcnt(0)
	global_store_dwordx2 v[6:7], v[2:3], off
	v_add_u32_e32 v2, 0x118, v38
	v_mov_b32_e32 v3, v39
	v_lshlrev_b64 v[2:3], 3, v[2:3]
	v_add_u32_e32 v6, 0x150, v38
	v_add_co_u32_e32 v2, vcc, v1, v2
	v_addc_co_u32_e32 v3, vcc, v0, v3, vcc
	global_store_dwordx2 v[2:3], v[4:5], off
	v_mov_b32_e32 v7, v39
	ds_read2_b64 v[2:5], v9 offset0:80 offset1:136
	v_lshlrev_b64 v[6:7], 3, v[6:7]
	v_add_co_u32_e32 v6, vcc, v1, v6
	v_addc_co_u32_e32 v7, vcc, v0, v7, vcc
	s_waitcnt lgkmcnt(0)
	global_store_dwordx2 v[6:7], v[2:3], off
	v_add_u32_e32 v2, 0x188, v38
	v_mov_b32_e32 v3, v39
	v_lshlrev_b64 v[2:3], 3, v[2:3]
	v_add_u32_e32 v6, 0x1c0, v38
	v_add_co_u32_e32 v2, vcc, v1, v2
	v_addc_co_u32_e32 v3, vcc, v0, v3, vcc
	global_store_dwordx2 v[2:3], v[4:5], off
	v_mov_b32_e32 v7, v39
	ds_read2_b64 v[2:5], v9 offset0:192 offset1:248
	v_lshlrev_b64 v[6:7], 3, v[6:7]
	v_add_u32_e32 v9, 0x1000, v8
	v_add_co_u32_e32 v6, vcc, v1, v6
	v_addc_co_u32_e32 v7, vcc, v0, v7, vcc
	s_waitcnt lgkmcnt(0)
	global_store_dwordx2 v[6:7], v[2:3], off
	v_add_u32_e32 v2, 0x1f8, v38
	v_mov_b32_e32 v3, v39
	v_lshlrev_b64 v[2:3], 3, v[2:3]
	v_add_u32_e32 v6, 0x230, v38
	v_add_co_u32_e32 v2, vcc, v1, v2
	v_addc_co_u32_e32 v3, vcc, v0, v3, vcc
	global_store_dwordx2 v[2:3], v[4:5], off
	v_mov_b32_e32 v7, v39
	ds_read2_b64 v[2:5], v9 offset0:48 offset1:104
	v_lshlrev_b64 v[6:7], 3, v[6:7]
	v_add_co_u32_e32 v6, vcc, v1, v6
	v_addc_co_u32_e32 v7, vcc, v0, v7, vcc
	s_waitcnt lgkmcnt(0)
	global_store_dwordx2 v[6:7], v[2:3], off
	v_add_u32_e32 v2, 0x268, v38
	v_mov_b32_e32 v3, v39
	v_lshlrev_b64 v[2:3], 3, v[2:3]
	v_add_u32_e32 v6, 0x2a0, v38
	v_add_co_u32_e32 v2, vcc, v1, v2
	v_addc_co_u32_e32 v3, vcc, v0, v3, vcc
	global_store_dwordx2 v[2:3], v[4:5], off
	v_mov_b32_e32 v7, v39
	ds_read2_b64 v[2:5], v9 offset0:160 offset1:216
	v_lshlrev_b64 v[6:7], 3, v[6:7]
	v_add_co_u32_e32 v6, vcc, v1, v6
	v_addc_co_u32_e32 v7, vcc, v0, v7, vcc
	s_waitcnt lgkmcnt(0)
	global_store_dwordx2 v[6:7], v[2:3], off
	v_add_u32_e32 v2, 0x2d8, v38
	v_mov_b32_e32 v3, v39
	v_lshlrev_b64 v[2:3], 3, v[2:3]
	v_add_co_u32_e32 v2, vcc, v1, v2
	v_addc_co_u32_e32 v3, vcc, v0, v3, vcc
	global_store_dwordx2 v[2:3], v[4:5], off
	v_add_u32_e32 v2, 0x310, v38
	v_mov_b32_e32 v3, v39
	ds_read_b64 v[4:5], v8 offset:6272
	v_lshlrev_b64 v[2:3], 3, v[2:3]
	v_add_co_u32_e32 v2, vcc, v1, v2
	v_addc_co_u32_e32 v3, vcc, v0, v3, vcc
	v_cmp_eq_u32_e32 vcc, 55, v38
	s_waitcnt lgkmcnt(0)
	global_store_dwordx2 v[2:3], v[4:5], off
	s_and_b64 exec, exec, vcc
	s_cbranch_execz .LBB0_36
; %bb.35:
	ds_read_b64 v[2:3], v39 offset:6720
	v_add_co_u32_e32 v4, vcc, 0x1000, v1
	v_addc_co_u32_e32 v5, vcc, 0, v0, vcc
	s_waitcnt lgkmcnt(0)
	global_store_dwordx2 v[4:5], v[2:3], off offset:2624
.LBB0_36:
	s_endpgm
	.section	.rodata,"a",@progbits
	.p2align	6, 0x0
	.amdhsa_kernel fft_rtc_fwd_len840_factors_2_2_2_3_5_7_wgs_56_tpt_56_halfLds_sp_op_CI_CI_unitstride_sbrr_R2C_dirReg
		.amdhsa_group_segment_fixed_size 0
		.amdhsa_private_segment_fixed_size 0
		.amdhsa_kernarg_size 104
		.amdhsa_user_sgpr_count 6
		.amdhsa_user_sgpr_private_segment_buffer 1
		.amdhsa_user_sgpr_dispatch_ptr 0
		.amdhsa_user_sgpr_queue_ptr 0
		.amdhsa_user_sgpr_kernarg_segment_ptr 1
		.amdhsa_user_sgpr_dispatch_id 0
		.amdhsa_user_sgpr_flat_scratch_init 0
		.amdhsa_user_sgpr_private_segment_size 0
		.amdhsa_uses_dynamic_stack 0
		.amdhsa_system_sgpr_private_segment_wavefront_offset 0
		.amdhsa_system_sgpr_workgroup_id_x 1
		.amdhsa_system_sgpr_workgroup_id_y 0
		.amdhsa_system_sgpr_workgroup_id_z 0
		.amdhsa_system_sgpr_workgroup_info 0
		.amdhsa_system_vgpr_workitem_id 0
		.amdhsa_next_free_vgpr 84
		.amdhsa_next_free_sgpr 28
		.amdhsa_reserve_vcc 1
		.amdhsa_reserve_flat_scratch 0
		.amdhsa_float_round_mode_32 0
		.amdhsa_float_round_mode_16_64 0
		.amdhsa_float_denorm_mode_32 3
		.amdhsa_float_denorm_mode_16_64 3
		.amdhsa_dx10_clamp 1
		.amdhsa_ieee_mode 1
		.amdhsa_fp16_overflow 0
		.amdhsa_exception_fp_ieee_invalid_op 0
		.amdhsa_exception_fp_denorm_src 0
		.amdhsa_exception_fp_ieee_div_zero 0
		.amdhsa_exception_fp_ieee_overflow 0
		.amdhsa_exception_fp_ieee_underflow 0
		.amdhsa_exception_fp_ieee_inexact 0
		.amdhsa_exception_int_div_zero 0
	.end_amdhsa_kernel
	.text
.Lfunc_end0:
	.size	fft_rtc_fwd_len840_factors_2_2_2_3_5_7_wgs_56_tpt_56_halfLds_sp_op_CI_CI_unitstride_sbrr_R2C_dirReg, .Lfunc_end0-fft_rtc_fwd_len840_factors_2_2_2_3_5_7_wgs_56_tpt_56_halfLds_sp_op_CI_CI_unitstride_sbrr_R2C_dirReg
                                        ; -- End function
	.section	.AMDGPU.csdata,"",@progbits
; Kernel info:
; codeLenInByte = 10932
; NumSgprs: 32
; NumVgprs: 84
; ScratchSize: 0
; MemoryBound: 0
; FloatMode: 240
; IeeeMode: 1
; LDSByteSize: 0 bytes/workgroup (compile time only)
; SGPRBlocks: 3
; VGPRBlocks: 20
; NumSGPRsForWavesPerEU: 32
; NumVGPRsForWavesPerEU: 84
; Occupancy: 3
; WaveLimiterHint : 1
; COMPUTE_PGM_RSRC2:SCRATCH_EN: 0
; COMPUTE_PGM_RSRC2:USER_SGPR: 6
; COMPUTE_PGM_RSRC2:TRAP_HANDLER: 0
; COMPUTE_PGM_RSRC2:TGID_X_EN: 1
; COMPUTE_PGM_RSRC2:TGID_Y_EN: 0
; COMPUTE_PGM_RSRC2:TGID_Z_EN: 0
; COMPUTE_PGM_RSRC2:TIDIG_COMP_CNT: 0
	.type	__hip_cuid_c865132cc43b9aeb,@object ; @__hip_cuid_c865132cc43b9aeb
	.section	.bss,"aw",@nobits
	.globl	__hip_cuid_c865132cc43b9aeb
__hip_cuid_c865132cc43b9aeb:
	.byte	0                               ; 0x0
	.size	__hip_cuid_c865132cc43b9aeb, 1

	.ident	"AMD clang version 19.0.0git (https://github.com/RadeonOpenCompute/llvm-project roc-6.4.0 25133 c7fe45cf4b819c5991fe208aaa96edf142730f1d)"
	.section	".note.GNU-stack","",@progbits
	.addrsig
	.addrsig_sym __hip_cuid_c865132cc43b9aeb
	.amdgpu_metadata
---
amdhsa.kernels:
  - .args:
      - .actual_access:  read_only
        .address_space:  global
        .offset:         0
        .size:           8
        .value_kind:     global_buffer
      - .offset:         8
        .size:           8
        .value_kind:     by_value
      - .actual_access:  read_only
        .address_space:  global
        .offset:         16
        .size:           8
        .value_kind:     global_buffer
      - .actual_access:  read_only
        .address_space:  global
        .offset:         24
        .size:           8
        .value_kind:     global_buffer
      - .actual_access:  read_only
        .address_space:  global
        .offset:         32
        .size:           8
        .value_kind:     global_buffer
      - .offset:         40
        .size:           8
        .value_kind:     by_value
      - .actual_access:  read_only
        .address_space:  global
        .offset:         48
        .size:           8
        .value_kind:     global_buffer
      - .actual_access:  read_only
        .address_space:  global
        .offset:         56
        .size:           8
        .value_kind:     global_buffer
      - .offset:         64
        .size:           4
        .value_kind:     by_value
      - .actual_access:  read_only
        .address_space:  global
        .offset:         72
        .size:           8
        .value_kind:     global_buffer
      - .actual_access:  read_only
        .address_space:  global
        .offset:         80
        .size:           8
        .value_kind:     global_buffer
      - .actual_access:  read_only
        .address_space:  global
        .offset:         88
        .size:           8
        .value_kind:     global_buffer
      - .actual_access:  write_only
        .address_space:  global
        .offset:         96
        .size:           8
        .value_kind:     global_buffer
    .group_segment_fixed_size: 0
    .kernarg_segment_align: 8
    .kernarg_segment_size: 104
    .language:       OpenCL C
    .language_version:
      - 2
      - 0
    .max_flat_workgroup_size: 56
    .name:           fft_rtc_fwd_len840_factors_2_2_2_3_5_7_wgs_56_tpt_56_halfLds_sp_op_CI_CI_unitstride_sbrr_R2C_dirReg
    .private_segment_fixed_size: 0
    .sgpr_count:     32
    .sgpr_spill_count: 0
    .symbol:         fft_rtc_fwd_len840_factors_2_2_2_3_5_7_wgs_56_tpt_56_halfLds_sp_op_CI_CI_unitstride_sbrr_R2C_dirReg.kd
    .uniform_work_group_size: 1
    .uses_dynamic_stack: false
    .vgpr_count:     84
    .vgpr_spill_count: 0
    .wavefront_size: 64
amdhsa.target:   amdgcn-amd-amdhsa--gfx906
amdhsa.version:
  - 1
  - 2
...

	.end_amdgpu_metadata
